;; amdgpu-corpus repo=triton-lang/triton kind=triton arch=gfx1100 opt=O3 lang=triton
	.amdgcn_target "amdgcn-amd-amdhsa--gfx1100"
	.amdhsa_code_object_version 5
	.text
	.globl	matmul_kernel_persistent        ; -- Begin function matmul_kernel_persistent
	.p2align	8
	.type	matmul_kernel_persistent,@function
matmul_kernel_persistent:               ; @matmul_kernel_persistent
.Lfunc_begin0:
	.file	1 "/root/src/amdgpu-assembly/repos/triton-lang__triton-aot" "persistent_matmul.py"
	.loc	1 19 0                          ; persistent_matmul.py:19:0
	.cfi_sections .debug_frame
	.cfi_startproc
; %bb.0:
	s_clause 0x2
	s_load_b128 s[20:23], s[0:1], 0x10
	s_load_b32 s38, s[0:1], 0x20
	s_load_b64 s[18:19], s[0:1], 0x34
.Ltmp0:
	.loc	1 19 0 prologue_end             ; persistent_matmul.py:19
	s_setreg_imm32_b32 hwreg(HW_REG_MODE, 23, 1), 1
	.loc	1 40 35                         ; persistent_matmul.py:40:35
	v_and_b32_e32 v1, 64, v0
	.loc	1 47 41                         ; persistent_matmul.py:47:41
	v_and_b32_e32 v2, 32, v0
.Ltmp1:
	.file	2 "/root/.local/lib/python3.13/site-packages/triton/language" "standard.py"
	.loc	2 43 17                         ; standard.py:43:17 @[ persistent_matmul.py:31:27 ]
	s_waitcnt lgkmcnt(0)
	s_add_i32 s2, s22, 63
.Ltmp2:
	.loc	1 47 41                         ; persistent_matmul.py:47:41
	v_and_b32_e32 v83, 15, v0
.Ltmp3:
	.loc	2 43 30                         ; standard.py:43:30 @[ persistent_matmul.py:31:27 ]
	s_ashr_i32 s4, s2, 31
.Ltmp4:
	.loc	1 47 41                         ; persistent_matmul.py:47:41
	v_lshrrev_b32_e32 v3, 2, v1
	v_lshrrev_b32_e32 v4, 4, v0
	v_lshrrev_b32_e32 v5, 1, v2
.Ltmp5:
	.loc	2 43 17                         ; standard.py:43:17 @[ persistent_matmul.py:32:27 ]
	s_add_i32 s3, s23, 63
.Ltmp6:
	.loc	2 43 30 is_stmt 0               ; standard.py:43:30 @[ persistent_matmul.py:31:27 ]
	s_lshr_b32 s4, s4, 26
.Ltmp7:
	.loc	1 47 41 is_stmt 1               ; persistent_matmul.py:47:41
	v_or_b32_e32 v65, v3, v83
.Ltmp8:
	.loc	2 43 30                         ; standard.py:43:30 @[ persistent_matmul.py:31:27 ]
	s_add_i32 s2, s2, s4
.Ltmp9:
	.loc	2 43 30 is_stmt 0               ; standard.py:43:30 @[ persistent_matmul.py:32:27 ]
	s_ashr_i32 s4, s3, 31
.Ltmp10:
	.loc	1 47 41 is_stmt 1               ; persistent_matmul.py:47:41
	v_and_or_b32 v66, v4, 1, v5
.Ltmp11:
	.loc	2 43 30                         ; standard.py:43:30 @[ persistent_matmul.py:32:27 ]
	s_lshr_b32 s4, s4, 26
.Ltmp12:
	.loc	2 43 30 is_stmt 0               ; standard.py:43:30 @[ persistent_matmul.py:31:27 ]
	s_ashr_i32 s30, s2, 6
.Ltmp13:
	.loc	2 43 30                         ; standard.py:43:30 @[ persistent_matmul.py:32:27 ]
	s_add_i32 s3, s3, s4
.Ltmp14:
	.loc	1 47 41 is_stmt 1               ; persistent_matmul.py:47:41
	v_or_b32_e32 v67, 32, v65
.Ltmp15:
	.loc	2 43 30                         ; standard.py:43:30 @[ persistent_matmul.py:32:27 ]
	s_ashr_i32 s2, s3, 6
.Ltmp16:
	.loc	1 47 41                         ; persistent_matmul.py:47:41
	v_or_b32_e32 v68, 2, v66
	v_or_b32_e32 v69, 4, v66
	;; [unrolled: 1-line block ×15, first 2 shown]
	.loc	1 55 24                         ; persistent_matmul.py:55:24
	s_add_i32 s3, s38, 62
	.loc	1 41 38                         ; persistent_matmul.py:41:38
	s_lshl_b32 s33, s2, 3
	.loc	1 34 28                         ; persistent_matmul.py:34:28
	s_mul_i32 s31, s2, s30
	.loc	1 55 24                         ; persistent_matmul.py:55:24
	s_cmp_gt_u32 s3, 62
	s_mov_b32 s2, -1
	s_cbranch_scc0 .LBB0_256
; %bb.1:
	.loc	1 43 59                         ; persistent_matmul.py:43:59
	s_sub_i32 s2, s31, s15
.Ltmp17:
	.loc	2 43 17 is_stmt 0               ; standard.py:43:17 @[ persistent_matmul.py:33:25 ]
	s_add_i32 s3, s38, 31
.Ltmp18:
	.loc	1 43 59                         ; persistent_matmul.py:43:59
	s_mul_hi_i32 s4, s2, 0x6bca1af3
.Ltmp19:
	.loc	2 43 30                         ; standard.py:43:30 @[ persistent_matmul.py:33:25 ]
	s_ashr_i32 s5, s3, 31
.Ltmp20:
	.loc	1 43 59                         ; persistent_matmul.py:43:59
	s_lshr_b32 s6, s4, 31
	s_ashr_i32 s4, s4, 7
.Ltmp21:
	.loc	2 43 30                         ; standard.py:43:30 @[ persistent_matmul.py:33:25 ]
	s_lshr_b32 s5, s5, 27
.Ltmp22:
	.loc	1 43 59                         ; persistent_matmul.py:43:59
	s_add_i32 s7, s4, s6
.Ltmp23:
	.loc	2 43 30                         ; standard.py:43:30 @[ persistent_matmul.py:33:25 ]
	s_add_i32 s3, s3, s5
.Ltmp24:
	.loc	1 43 59                         ; persistent_matmul.py:43:59
	s_mulk_i32 s7, 0x130
.Ltmp25:
	.loc	2 43 30                         ; standard.py:43:30 @[ persistent_matmul.py:33:25 ]
	s_ashr_i32 s3, s3, 5
.Ltmp26:
	.loc	1 43 59                         ; persistent_matmul.py:43:59
	s_cmp_lg_u32 s2, s7
	s_clause 0x1
	s_load_b64 s[24:25], s[0:1], 0x24
	s_load_b64 s[26:27], s[0:1], 0x0
	s_cselect_b32 s5, -1, 0
	s_cmp_gt_i32 s2, -1
	.loc	1 47 41 is_stmt 1               ; persistent_matmul.py:47:41
	v_lshrrev_b32_e32 v84, 5, v0
	.loc	1 43 59                         ; persistent_matmul.py:43:59
	s_cselect_b32 s2, -1, 0
	.loc	1 40 35                         ; persistent_matmul.py:40:35
	v_and_b32_e32 v85, 31, v0
	.loc	1 43 59                         ; persistent_matmul.py:43:59
	s_and_b32 s2, s2, s5
	s_addc_u32 s2, s4, s6
	s_max_i32 s39, s3, 1
	v_mov_b32_e32 v4, 0
	s_mul_i32 s2, s2, s39
	s_delay_alu instid0(SALU_CYCLE_1)
	s_cmp_gt_i32 s2, 0
	s_cselect_b32 s35, -1, 0
.Ltmp27:
	.loc	1 10 26                         ; persistent_matmul.py:10:26 @[ persistent_matmul.py:44:88 ]
	s_abs_i32 s34, s33
	s_abs_i32 s5, s15
	v_cvt_f32_u32_e32 v3, s34
	s_sub_i32 s3, 0, s34
	s_ashr_i32 s6, s15, 31
	s_ashr_i32 s36, s33, 31
.Ltmp28:
	.loc	1 57 79                         ; persistent_matmul.py:57:79
	s_waitcnt lgkmcnt(0)
	v_mul_lo_u32 v19, s25, v85
.Ltmp29:
	.loc	1 10 26                         ; persistent_matmul.py:10:26 @[ persistent_matmul.py:44:88 ]
	v_rcp_iflag_f32_e32 v3, v3
	s_xor_b32 s7, s6, s36
	s_waitcnt_depctr depctr_va_vdst(0)
	v_mul_f32_e32 v3, 0x4f7ffffe, v3
	s_delay_alu instid0(VALU_DEP_1) | instskip(NEXT) | instid1(VALU_DEP_1)
	v_cvt_u32_f32_e32 v3, v3
	v_readfirstlane_b32 s37, v3
	s_mul_i32 s3, s3, s37
	s_delay_alu instid0(SALU_CYCLE_1) | instskip(NEXT) | instid1(SALU_CYCLE_1)
	s_mul_hi_u32 s3, s37, s3
	s_add_i32 s37, s37, s3
	s_delay_alu instid0(SALU_CYCLE_1) | instskip(NEXT) | instid1(SALU_CYCLE_1)
	s_mul_hi_u32 s3, s5, s37
	s_mul_i32 s4, s3, s34
	s_add_i32 s8, s3, 1
	s_sub_i32 s4, s5, s4
	s_delay_alu instid0(SALU_CYCLE_1)
	s_sub_i32 s9, s4, s34
	s_cmp_ge_u32 s4, s34
	s_cselect_b32 s3, s8, s3
	s_cselect_b32 s4, s9, s4
	s_add_i32 s8, s3, 1
	s_cmp_ge_u32 s4, s34
	s_cselect_b32 s3, s8, s3
	s_delay_alu instid0(SALU_CYCLE_1) | instskip(NEXT) | instid1(SALU_CYCLE_1)
	s_xor_b32 s3, s3, s7
	s_sub_i32 s8, s3, s7
	s_delay_alu instid0(SALU_CYCLE_1) | instskip(NEXT) | instid1(SALU_CYCLE_1)
	.loc	1 11 29                         ; persistent_matmul.py:11:29 @[ persistent_matmul.py:44:88 ]
	s_lshl_b32 s9, s8, 3
	.loc	1 12 35                         ; persistent_matmul.py:12:35 @[ persistent_matmul.py:44:88 ]
	s_sub_i32 s3, s30, s9
	s_delay_alu instid0(SALU_CYCLE_1) | instskip(NEXT) | instid1(SALU_CYCLE_1)
	.loc	1 12 48 is_stmt 0               ; persistent_matmul.py:12:48 @[ persistent_matmul.py:44:88 ]
	s_min_i32 s4, s3, 8
	.loc	1 13 37 is_stmt 1               ; persistent_matmul.py:13:37 @[ persistent_matmul.py:44:88 ]
	s_abs_i32 s3, s4
	s_delay_alu instid0(SALU_CYCLE_1) | instskip(SKIP_1) | instid1(VALU_DEP_1)
	v_cvt_f32_u32_e32 v3, s3
	s_sub_i32 s10, 0, s3
	v_rcp_iflag_f32_e32 v3, v3
	s_waitcnt_depctr depctr_va_vdst(0)
	v_mul_f32_e32 v3, 0x4f7ffffe, v3
	s_delay_alu instid0(VALU_DEP_1) | instskip(NEXT) | instid1(VALU_DEP_1)
	v_cvt_u32_f32_e32 v3, v3
	v_readfirstlane_b32 s7, v3
	s_mul_i32 s10, s10, s7
	s_delay_alu instid0(SALU_CYCLE_1) | instskip(NEXT) | instid1(SALU_CYCLE_1)
	s_mul_hi_u32 s10, s7, s10
	s_add_i32 s7, s7, s10
	s_delay_alu instid0(SALU_CYCLE_1) | instskip(NEXT) | instid1(SALU_CYCLE_1)
	s_mul_hi_u32 s10, s5, s7
	s_mul_i32 s10, s10, s3
	s_delay_alu instid0(SALU_CYCLE_1) | instskip(NEXT) | instid1(SALU_CYCLE_1)
	s_sub_i32 s5, s5, s10
	s_sub_i32 s10, s5, s3
	s_cmp_ge_u32 s5, s3
	s_cselect_b32 s5, s10, s5
	s_delay_alu instid0(SALU_CYCLE_1) | instskip(SKIP_2) | instid1(SALU_CYCLE_1)
	s_sub_i32 s10, s5, s3
	s_cmp_ge_u32 s5, s3
	s_cselect_b32 s5, s10, s5
	s_xor_b32 s5, s5, s6
	s_delay_alu instid0(SALU_CYCLE_1) | instskip(NEXT) | instid1(SALU_CYCLE_1)
	s_sub_i32 s5, s5, s6
	.loc	1 13 27 is_stmt 0               ; persistent_matmul.py:13:27 @[ persistent_matmul.py:44:88 ]
	s_add_i32 s9, s9, s5
	s_delay_alu instid0(SALU_CYCLE_1) | instskip(NEXT) | instid1(SALU_CYCLE_1)
.Ltmp30:
	.loc	1 45 26 is_stmt 1               ; persistent_matmul.py:45:26
	s_lshl_b32 s5, s9, 6
	.loc	1 47 28                         ; persistent_matmul.py:47:28
	v_or_b32_e32 v3, s5, v84
	s_delay_alu instid0(VALU_DEP_1) | instskip(SKIP_2) | instid1(VALU_DEP_2)
	.loc	1 49 37                         ; persistent_matmul.py:49:37
	v_cmp_gt_i32_e32 vcc_lo, s22, v3
	.loc	1 49 49 is_stmt 0               ; persistent_matmul.py:49:49
	v_cndmask_b32_e32 v3, 0, v3, vcc_lo
	.loc	1 60 64 is_stmt 1               ; persistent_matmul.py:60:64
	v_cmp_gt_i32_e32 vcc_lo, s38, v85
	.loc	1 57 49                         ; persistent_matmul.py:57:49
	v_mul_lo_u32 v91, v3, s24
	v_mov_b32_e32 v3, 0
	.loc	1 43 59                         ; persistent_matmul.py:43:59
	s_and_b32 s6, vcc_lo, s35
	s_delay_alu instid0(SALU_CYCLE_1)
	.loc	1 60 24                         ; persistent_matmul.py:60:24
	s_and_saveexec_b32 s9, s6
	s_cbranch_execz .LBB0_3
; %bb.2:
	.loc	1 0 24 is_stmt 0                ; persistent_matmul.py:0:24
	s_delay_alu instid0(VALU_DEP_2) | instskip(NEXT) | instid1(VALU_DEP_1)
	v_add_nc_u32_e32 v4, v91, v19
	v_ashrrev_i32_e32 v5, 31, v4
	s_delay_alu instid0(VALU_DEP_1) | instskip(NEXT) | instid1(VALU_DEP_1)
	v_lshlrev_b64 v[4:5], 1, v[4:5]
	v_add_co_u32 v4, vcc_lo, s26, v4
	s_delay_alu instid0(VALU_DEP_1)
	v_add_co_ci_u32_e64 v5, null, s27, v5, vcc_lo
	.loc	1 60 24                         ; persistent_matmul.py:60:24
	global_load_u16 v4, v[4:5], off
.LBB0_3:
	.loc	1 0 24                          ; persistent_matmul.py:0:24
	s_or_b32 exec_lo, exec_lo, s9
	.loc	1 47 41 is_stmt 1               ; persistent_matmul.py:47:41
	v_or_b32_e32 v86, 4, v84
	s_delay_alu instid0(VALU_DEP_1) | instskip(NEXT) | instid1(VALU_DEP_1)
	.loc	1 47 28 is_stmt 0               ; persistent_matmul.py:47:28
	v_or_b32_e32 v5, s5, v86
	.loc	1 49 37 is_stmt 1               ; persistent_matmul.py:49:37
	v_cmp_gt_i32_e32 vcc_lo, s22, v5
	.loc	1 49 49 is_stmt 0               ; persistent_matmul.py:49:49
	v_cndmask_b32_e32 v5, 0, v5, vcc_lo
	s_delay_alu instid0(VALU_DEP_1)
	.loc	1 57 49 is_stmt 1               ; persistent_matmul.py:57:49
	v_mul_lo_u32 v93, v5, s24
	.loc	1 60 24                         ; persistent_matmul.py:60:24
	s_and_saveexec_b32 s9, s6
	s_cbranch_execz .LBB0_5
; %bb.4:
	.loc	1 0 24 is_stmt 0                ; persistent_matmul.py:0:24
	s_delay_alu instid0(VALU_DEP_1) | instskip(NEXT) | instid1(VALU_DEP_1)
	.loc	1 57 61 is_stmt 1               ; persistent_matmul.py:57:61
	v_add_nc_u32_e32 v5, v93, v19
	.loc	1 57 30 is_stmt 0               ; persistent_matmul.py:57:30
	v_ashrrev_i32_e32 v6, 31, v5
	s_delay_alu instid0(VALU_DEP_1) | instskip(NEXT) | instid1(VALU_DEP_1)
	v_lshlrev_b64 v[5:6], 1, v[5:6]
	v_add_co_u32 v5, vcc_lo, s26, v5
	s_delay_alu instid0(VALU_DEP_1)
	v_add_co_ci_u32_e64 v6, null, s27, v6, vcc_lo
	.loc	1 60 24 is_stmt 1               ; persistent_matmul.py:60:24
	global_load_u16 v3, v[5:6], off
.LBB0_5:
	.loc	1 0 24 is_stmt 0                ; persistent_matmul.py:0:24
	s_or_b32 exec_lo, exec_lo, s9
	.loc	1 47 41 is_stmt 1               ; persistent_matmul.py:47:41
	v_or_b32_e32 v87, 8, v84
	v_mov_b32_e32 v6, 0
	s_delay_alu instid0(VALU_DEP_2) | instskip(NEXT) | instid1(VALU_DEP_1)
	.loc	1 47 28 is_stmt 0               ; persistent_matmul.py:47:28
	v_or_b32_e32 v5, s5, v87
	.loc	1 49 37 is_stmt 1               ; persistent_matmul.py:49:37
	v_cmp_gt_i32_e32 vcc_lo, s22, v5
	.loc	1 49 49 is_stmt 0               ; persistent_matmul.py:49:49
	v_cndmask_b32_e32 v5, 0, v5, vcc_lo
	s_delay_alu instid0(VALU_DEP_1)
	.loc	1 57 49 is_stmt 1               ; persistent_matmul.py:57:49
	v_mul_lo_u32 v95, v5, s24
	v_mov_b32_e32 v5, 0
	.loc	1 60 24                         ; persistent_matmul.py:60:24
	s_and_saveexec_b32 s9, s6
	s_cbranch_execz .LBB0_7
; %bb.6:
	.loc	1 0 24 is_stmt 0                ; persistent_matmul.py:0:24
	s_delay_alu instid0(VALU_DEP_2) | instskip(NEXT) | instid1(VALU_DEP_1)
	.loc	1 57 61 is_stmt 1               ; persistent_matmul.py:57:61
	v_add_nc_u32_e32 v6, v95, v19
	.loc	1 57 30 is_stmt 0               ; persistent_matmul.py:57:30
	v_ashrrev_i32_e32 v7, 31, v6
	s_delay_alu instid0(VALU_DEP_1) | instskip(NEXT) | instid1(VALU_DEP_1)
	v_lshlrev_b64 v[6:7], 1, v[6:7]
	v_add_co_u32 v6, vcc_lo, s26, v6
	s_delay_alu instid0(VALU_DEP_1)
	v_add_co_ci_u32_e64 v7, null, s27, v7, vcc_lo
	.loc	1 60 24 is_stmt 1               ; persistent_matmul.py:60:24
	global_load_u16 v6, v[6:7], off
.LBB0_7:
	.loc	1 0 24 is_stmt 0                ; persistent_matmul.py:0:24
	s_or_b32 exec_lo, exec_lo, s9
	.loc	1 47 41 is_stmt 1               ; persistent_matmul.py:47:41
	v_or_b32_e32 v88, 12, v84
	s_delay_alu instid0(VALU_DEP_1) | instskip(NEXT) | instid1(VALU_DEP_1)
	.loc	1 47 28 is_stmt 0               ; persistent_matmul.py:47:28
	v_or_b32_e32 v7, s5, v88
	.loc	1 49 37 is_stmt 1               ; persistent_matmul.py:49:37
	v_cmp_gt_i32_e32 vcc_lo, s22, v7
	.loc	1 49 49 is_stmt 0               ; persistent_matmul.py:49:49
	v_cndmask_b32_e32 v7, 0, v7, vcc_lo
	s_delay_alu instid0(VALU_DEP_1)
	.loc	1 57 49 is_stmt 1               ; persistent_matmul.py:57:49
	v_mul_lo_u32 v97, v7, s24
	.loc	1 60 24                         ; persistent_matmul.py:60:24
	s_and_saveexec_b32 s9, s6
	s_cbranch_execz .LBB0_9
; %bb.8:
	.loc	1 0 24 is_stmt 0                ; persistent_matmul.py:0:24
	s_delay_alu instid0(VALU_DEP_1) | instskip(NEXT) | instid1(VALU_DEP_1)
	.loc	1 57 61 is_stmt 1               ; persistent_matmul.py:57:61
	v_add_nc_u32_e32 v7, v97, v19
	.loc	1 57 30 is_stmt 0               ; persistent_matmul.py:57:30
	v_ashrrev_i32_e32 v8, 31, v7
	s_delay_alu instid0(VALU_DEP_1) | instskip(NEXT) | instid1(VALU_DEP_1)
	v_lshlrev_b64 v[7:8], 1, v[7:8]
	v_add_co_u32 v7, vcc_lo, s26, v7
	s_delay_alu instid0(VALU_DEP_1)
	v_add_co_ci_u32_e64 v8, null, s27, v8, vcc_lo
	.loc	1 60 24 is_stmt 1               ; persistent_matmul.py:60:24
	global_load_u16 v5, v[7:8], off
.LBB0_9:
	.loc	1 0 24 is_stmt 0                ; persistent_matmul.py:0:24
	s_or_b32 exec_lo, exec_lo, s9
	.loc	1 47 41 is_stmt 1               ; persistent_matmul.py:47:41
	v_or_b32_e32 v89, 16, v84
	v_mov_b32_e32 v8, 0
	s_delay_alu instid0(VALU_DEP_2) | instskip(NEXT) | instid1(VALU_DEP_1)
	.loc	1 47 28 is_stmt 0               ; persistent_matmul.py:47:28
	v_or_b32_e32 v7, s5, v89
	.loc	1 49 37 is_stmt 1               ; persistent_matmul.py:49:37
	v_cmp_gt_i32_e32 vcc_lo, s22, v7
	.loc	1 49 49 is_stmt 0               ; persistent_matmul.py:49:49
	v_cndmask_b32_e32 v7, 0, v7, vcc_lo
	s_delay_alu instid0(VALU_DEP_1)
	.loc	1 57 49 is_stmt 1               ; persistent_matmul.py:57:49
	v_mul_lo_u32 v99, v7, s24
	v_mov_b32_e32 v7, 0
	.loc	1 60 24                         ; persistent_matmul.py:60:24
	s_and_saveexec_b32 s9, s6
	s_cbranch_execz .LBB0_11
; %bb.10:
	.loc	1 0 24 is_stmt 0                ; persistent_matmul.py:0:24
	s_delay_alu instid0(VALU_DEP_2) | instskip(NEXT) | instid1(VALU_DEP_1)
	.loc	1 57 61 is_stmt 1               ; persistent_matmul.py:57:61
	v_add_nc_u32_e32 v8, v99, v19
	.loc	1 57 30 is_stmt 0               ; persistent_matmul.py:57:30
	v_ashrrev_i32_e32 v9, 31, v8
	s_delay_alu instid0(VALU_DEP_1) | instskip(NEXT) | instid1(VALU_DEP_1)
	v_lshlrev_b64 v[8:9], 1, v[8:9]
	v_add_co_u32 v8, vcc_lo, s26, v8
	s_delay_alu instid0(VALU_DEP_1)
	v_add_co_ci_u32_e64 v9, null, s27, v9, vcc_lo
	.loc	1 60 24 is_stmt 1               ; persistent_matmul.py:60:24
	global_load_u16 v8, v[8:9], off
.LBB0_11:
	.loc	1 0 24 is_stmt 0                ; persistent_matmul.py:0:24
	s_or_b32 exec_lo, exec_lo, s9
	.loc	1 47 41 is_stmt 1               ; persistent_matmul.py:47:41
	v_or_b32_e32 v90, 20, v84
	s_delay_alu instid0(VALU_DEP_1) | instskip(NEXT) | instid1(VALU_DEP_1)
	.loc	1 47 28 is_stmt 0               ; persistent_matmul.py:47:28
	v_or_b32_e32 v9, s5, v90
	.loc	1 49 37 is_stmt 1               ; persistent_matmul.py:49:37
	v_cmp_gt_i32_e32 vcc_lo, s22, v9
	.loc	1 49 49 is_stmt 0               ; persistent_matmul.py:49:49
	v_cndmask_b32_e32 v9, 0, v9, vcc_lo
	s_delay_alu instid0(VALU_DEP_1)
	.loc	1 57 49 is_stmt 1               ; persistent_matmul.py:57:49
	v_mul_lo_u32 v101, v9, s24
	.loc	1 60 24                         ; persistent_matmul.py:60:24
	s_and_saveexec_b32 s9, s6
	s_cbranch_execz .LBB0_13
; %bb.12:
	.loc	1 0 24 is_stmt 0                ; persistent_matmul.py:0:24
	s_delay_alu instid0(VALU_DEP_1) | instskip(NEXT) | instid1(VALU_DEP_1)
	.loc	1 57 61 is_stmt 1               ; persistent_matmul.py:57:61
	v_add_nc_u32_e32 v9, v101, v19
	.loc	1 57 30 is_stmt 0               ; persistent_matmul.py:57:30
	v_ashrrev_i32_e32 v10, 31, v9
	s_delay_alu instid0(VALU_DEP_1) | instskip(NEXT) | instid1(VALU_DEP_1)
	v_lshlrev_b64 v[9:10], 1, v[9:10]
	v_add_co_u32 v9, vcc_lo, s26, v9
	s_delay_alu instid0(VALU_DEP_1)
	v_add_co_ci_u32_e64 v10, null, s27, v10, vcc_lo
	.loc	1 60 24 is_stmt 1               ; persistent_matmul.py:60:24
	global_load_u16 v7, v[9:10], off
.LBB0_13:
	.loc	1 0 24 is_stmt 0                ; persistent_matmul.py:0:24
	s_or_b32 exec_lo, exec_lo, s9
	.loc	1 47 41 is_stmt 1               ; persistent_matmul.py:47:41
	v_or_b32_e32 v92, 24, v84
	v_mov_b32_e32 v10, 0
	s_delay_alu instid0(VALU_DEP_2) | instskip(NEXT) | instid1(VALU_DEP_1)
	.loc	1 47 28 is_stmt 0               ; persistent_matmul.py:47:28
	v_or_b32_e32 v9, s5, v92
	.loc	1 49 37 is_stmt 1               ; persistent_matmul.py:49:37
	v_cmp_gt_i32_e32 vcc_lo, s22, v9
	.loc	1 49 49 is_stmt 0               ; persistent_matmul.py:49:49
	v_cndmask_b32_e32 v9, 0, v9, vcc_lo
	s_delay_alu instid0(VALU_DEP_1)
	.loc	1 57 49 is_stmt 1               ; persistent_matmul.py:57:49
	v_mul_lo_u32 v103, v9, s24
	v_mov_b32_e32 v9, 0
	.loc	1 60 24                         ; persistent_matmul.py:60:24
	s_and_saveexec_b32 s9, s6
	s_cbranch_execz .LBB0_15
; %bb.14:
	.loc	1 0 24 is_stmt 0                ; persistent_matmul.py:0:24
	s_delay_alu instid0(VALU_DEP_2) | instskip(NEXT) | instid1(VALU_DEP_1)
	.loc	1 57 61 is_stmt 1               ; persistent_matmul.py:57:61
	v_add_nc_u32_e32 v10, v103, v19
	.loc	1 57 30 is_stmt 0               ; persistent_matmul.py:57:30
	v_ashrrev_i32_e32 v11, 31, v10
	s_delay_alu instid0(VALU_DEP_1) | instskip(NEXT) | instid1(VALU_DEP_1)
	v_lshlrev_b64 v[10:11], 1, v[10:11]
	v_add_co_u32 v10, vcc_lo, s26, v10
	s_delay_alu instid0(VALU_DEP_1)
	v_add_co_ci_u32_e64 v11, null, s27, v11, vcc_lo
	.loc	1 60 24 is_stmt 1               ; persistent_matmul.py:60:24
	global_load_u16 v10, v[10:11], off
.LBB0_15:
	.loc	1 0 24 is_stmt 0                ; persistent_matmul.py:0:24
	s_or_b32 exec_lo, exec_lo, s9
	.loc	1 47 41 is_stmt 1               ; persistent_matmul.py:47:41
	v_or_b32_e32 v94, 28, v84
	s_delay_alu instid0(VALU_DEP_1) | instskip(NEXT) | instid1(VALU_DEP_1)
	.loc	1 47 28 is_stmt 0               ; persistent_matmul.py:47:28
	v_or_b32_e32 v11, s5, v94
	.loc	1 49 37 is_stmt 1               ; persistent_matmul.py:49:37
	v_cmp_gt_i32_e32 vcc_lo, s22, v11
	.loc	1 49 49 is_stmt 0               ; persistent_matmul.py:49:49
	v_cndmask_b32_e32 v11, 0, v11, vcc_lo
	s_delay_alu instid0(VALU_DEP_1)
	.loc	1 57 49 is_stmt 1               ; persistent_matmul.py:57:49
	v_mul_lo_u32 v105, v11, s24
	.loc	1 60 24                         ; persistent_matmul.py:60:24
	s_and_saveexec_b32 s9, s6
	s_cbranch_execz .LBB0_17
; %bb.16:
	.loc	1 0 24 is_stmt 0                ; persistent_matmul.py:0:24
	s_delay_alu instid0(VALU_DEP_1) | instskip(NEXT) | instid1(VALU_DEP_1)
	.loc	1 57 61 is_stmt 1               ; persistent_matmul.py:57:61
	v_add_nc_u32_e32 v11, v105, v19
	.loc	1 57 30 is_stmt 0               ; persistent_matmul.py:57:30
	v_ashrrev_i32_e32 v12, 31, v11
	s_delay_alu instid0(VALU_DEP_1) | instskip(NEXT) | instid1(VALU_DEP_1)
	v_lshlrev_b64 v[11:12], 1, v[11:12]
	v_add_co_u32 v11, vcc_lo, s26, v11
	s_delay_alu instid0(VALU_DEP_1)
	v_add_co_ci_u32_e64 v12, null, s27, v12, vcc_lo
	.loc	1 60 24 is_stmt 1               ; persistent_matmul.py:60:24
	global_load_u16 v9, v[11:12], off
.LBB0_17:
	.loc	1 0 24 is_stmt 0                ; persistent_matmul.py:0:24
	s_or_b32 exec_lo, exec_lo, s9
	.loc	1 47 41 is_stmt 1               ; persistent_matmul.py:47:41
	v_or_b32_e32 v96, 32, v84
	v_mov_b32_e32 v12, 0
	s_delay_alu instid0(VALU_DEP_2) | instskip(NEXT) | instid1(VALU_DEP_1)
	.loc	1 47 28 is_stmt 0               ; persistent_matmul.py:47:28
	v_or_b32_e32 v11, s5, v96
	.loc	1 49 37 is_stmt 1               ; persistent_matmul.py:49:37
	v_cmp_gt_i32_e32 vcc_lo, s22, v11
	.loc	1 49 49 is_stmt 0               ; persistent_matmul.py:49:49
	v_cndmask_b32_e32 v11, 0, v11, vcc_lo
	s_delay_alu instid0(VALU_DEP_1)
	.loc	1 57 49 is_stmt 1               ; persistent_matmul.py:57:49
	v_mul_lo_u32 v107, v11, s24
	v_mov_b32_e32 v11, 0
	.loc	1 60 24                         ; persistent_matmul.py:60:24
	s_and_saveexec_b32 s9, s6
	s_cbranch_execz .LBB0_19
; %bb.18:
	.loc	1 0 24 is_stmt 0                ; persistent_matmul.py:0:24
	s_delay_alu instid0(VALU_DEP_2) | instskip(NEXT) | instid1(VALU_DEP_1)
	.loc	1 57 61 is_stmt 1               ; persistent_matmul.py:57:61
	v_add_nc_u32_e32 v12, v107, v19
	.loc	1 57 30 is_stmt 0               ; persistent_matmul.py:57:30
	v_ashrrev_i32_e32 v13, 31, v12
	s_delay_alu instid0(VALU_DEP_1) | instskip(NEXT) | instid1(VALU_DEP_1)
	v_lshlrev_b64 v[12:13], 1, v[12:13]
	v_add_co_u32 v12, vcc_lo, s26, v12
	s_delay_alu instid0(VALU_DEP_1)
	v_add_co_ci_u32_e64 v13, null, s27, v13, vcc_lo
	.loc	1 60 24 is_stmt 1               ; persistent_matmul.py:60:24
	global_load_u16 v12, v[12:13], off
.LBB0_19:
	.loc	1 0 24 is_stmt 0                ; persistent_matmul.py:0:24
	s_or_b32 exec_lo, exec_lo, s9
	.loc	1 47 41 is_stmt 1               ; persistent_matmul.py:47:41
	v_or_b32_e32 v98, 36, v84
	s_delay_alu instid0(VALU_DEP_1) | instskip(NEXT) | instid1(VALU_DEP_1)
	.loc	1 47 28 is_stmt 0               ; persistent_matmul.py:47:28
	v_or_b32_e32 v13, s5, v98
	.loc	1 49 37 is_stmt 1               ; persistent_matmul.py:49:37
	v_cmp_gt_i32_e32 vcc_lo, s22, v13
	.loc	1 49 49 is_stmt 0               ; persistent_matmul.py:49:49
	v_cndmask_b32_e32 v13, 0, v13, vcc_lo
	s_delay_alu instid0(VALU_DEP_1)
	.loc	1 57 49 is_stmt 1               ; persistent_matmul.py:57:49
	v_mul_lo_u32 v109, v13, s24
	.loc	1 60 24                         ; persistent_matmul.py:60:24
	s_and_saveexec_b32 s9, s6
	s_cbranch_execz .LBB0_21
; %bb.20:
	.loc	1 0 24 is_stmt 0                ; persistent_matmul.py:0:24
	s_delay_alu instid0(VALU_DEP_1) | instskip(NEXT) | instid1(VALU_DEP_1)
	.loc	1 57 61 is_stmt 1               ; persistent_matmul.py:57:61
	v_add_nc_u32_e32 v13, v109, v19
	.loc	1 57 30 is_stmt 0               ; persistent_matmul.py:57:30
	v_ashrrev_i32_e32 v14, 31, v13
	s_delay_alu instid0(VALU_DEP_1) | instskip(NEXT) | instid1(VALU_DEP_1)
	v_lshlrev_b64 v[13:14], 1, v[13:14]
	v_add_co_u32 v13, vcc_lo, s26, v13
	s_delay_alu instid0(VALU_DEP_1)
	v_add_co_ci_u32_e64 v14, null, s27, v14, vcc_lo
	.loc	1 60 24 is_stmt 1               ; persistent_matmul.py:60:24
	global_load_u16 v11, v[13:14], off
.LBB0_21:
	.loc	1 0 24 is_stmt 0                ; persistent_matmul.py:0:24
	s_or_b32 exec_lo, exec_lo, s9
	.loc	1 47 41 is_stmt 1               ; persistent_matmul.py:47:41
	v_or_b32_e32 v100, 40, v84
	v_mov_b32_e32 v14, 0
	s_delay_alu instid0(VALU_DEP_2) | instskip(NEXT) | instid1(VALU_DEP_1)
	.loc	1 47 28 is_stmt 0               ; persistent_matmul.py:47:28
	v_or_b32_e32 v13, s5, v100
	.loc	1 49 37 is_stmt 1               ; persistent_matmul.py:49:37
	v_cmp_gt_i32_e32 vcc_lo, s22, v13
	.loc	1 49 49 is_stmt 0               ; persistent_matmul.py:49:49
	v_cndmask_b32_e32 v13, 0, v13, vcc_lo
	s_delay_alu instid0(VALU_DEP_1)
	.loc	1 57 49 is_stmt 1               ; persistent_matmul.py:57:49
	v_mul_lo_u32 v111, v13, s24
	v_mov_b32_e32 v13, 0
	.loc	1 60 24                         ; persistent_matmul.py:60:24
	s_and_saveexec_b32 s9, s6
	s_cbranch_execz .LBB0_23
; %bb.22:
	.loc	1 0 24 is_stmt 0                ; persistent_matmul.py:0:24
	s_delay_alu instid0(VALU_DEP_2) | instskip(NEXT) | instid1(VALU_DEP_1)
	.loc	1 57 61 is_stmt 1               ; persistent_matmul.py:57:61
	v_add_nc_u32_e32 v14, v111, v19
	.loc	1 57 30 is_stmt 0               ; persistent_matmul.py:57:30
	v_ashrrev_i32_e32 v15, 31, v14
	s_delay_alu instid0(VALU_DEP_1) | instskip(NEXT) | instid1(VALU_DEP_1)
	v_lshlrev_b64 v[14:15], 1, v[14:15]
	v_add_co_u32 v14, vcc_lo, s26, v14
	s_delay_alu instid0(VALU_DEP_1)
	v_add_co_ci_u32_e64 v15, null, s27, v15, vcc_lo
	.loc	1 60 24 is_stmt 1               ; persistent_matmul.py:60:24
	global_load_u16 v14, v[14:15], off
.LBB0_23:
	.loc	1 0 24 is_stmt 0                ; persistent_matmul.py:0:24
	s_or_b32 exec_lo, exec_lo, s9
	.loc	1 47 41 is_stmt 1               ; persistent_matmul.py:47:41
	v_or_b32_e32 v102, 44, v84
	s_mul_i32 s8, s8, s33
	s_delay_alu instid0(VALU_DEP_1) | instskip(NEXT) | instid1(VALU_DEP_1)
	.loc	1 47 28 is_stmt 0               ; persistent_matmul.py:47:28
	v_or_b32_e32 v15, s5, v102
	.loc	1 49 37 is_stmt 1               ; persistent_matmul.py:49:37
	v_cmp_gt_i32_e32 vcc_lo, s22, v15
	.loc	1 49 49 is_stmt 0               ; persistent_matmul.py:49:49
	v_cndmask_b32_e32 v15, 0, v15, vcc_lo
	s_delay_alu instid0(VALU_DEP_1)
	.loc	1 57 49 is_stmt 1               ; persistent_matmul.py:57:49
	v_mul_lo_u32 v112, v15, s24
	.loc	1 60 24                         ; persistent_matmul.py:60:24
	s_and_saveexec_b32 s9, s6
	s_cbranch_execz .LBB0_25
; %bb.24:
	.loc	1 0 24 is_stmt 0                ; persistent_matmul.py:0:24
	s_delay_alu instid0(VALU_DEP_1) | instskip(NEXT) | instid1(VALU_DEP_1)
	.loc	1 57 61 is_stmt 1               ; persistent_matmul.py:57:61
	v_add_nc_u32_e32 v15, v112, v19
	.loc	1 57 30 is_stmt 0               ; persistent_matmul.py:57:30
	v_ashrrev_i32_e32 v16, 31, v15
	s_delay_alu instid0(VALU_DEP_1) | instskip(NEXT) | instid1(VALU_DEP_1)
	v_lshlrev_b64 v[15:16], 1, v[15:16]
	v_add_co_u32 v15, vcc_lo, s26, v15
	s_delay_alu instid0(VALU_DEP_1)
	v_add_co_ci_u32_e64 v16, null, s27, v16, vcc_lo
	.loc	1 60 24 is_stmt 1               ; persistent_matmul.py:60:24
	global_load_u16 v13, v[15:16], off
.LBB0_25:
	.loc	1 0 24 is_stmt 0                ; persistent_matmul.py:0:24
	s_or_b32 exec_lo, exec_lo, s9
	.loc	1 47 41 is_stmt 1               ; persistent_matmul.py:47:41
	v_or_b32_e32 v104, 48, v84
	s_sub_i32 s9, s15, s8
	v_mov_b32_e32 v16, 0
	s_delay_alu instid0(VALU_DEP_2) | instskip(NEXT) | instid1(VALU_DEP_1)
	.loc	1 47 28 is_stmt 0               ; persistent_matmul.py:47:28
	v_or_b32_e32 v15, s5, v104
	.loc	1 49 37 is_stmt 1               ; persistent_matmul.py:49:37
	v_cmp_gt_i32_e32 vcc_lo, s22, v15
	.loc	1 49 49 is_stmt 0               ; persistent_matmul.py:49:49
	v_cndmask_b32_e32 v15, 0, v15, vcc_lo
	s_delay_alu instid0(VALU_DEP_1)
	.loc	1 57 49 is_stmt 1               ; persistent_matmul.py:57:49
	v_mul_lo_u32 v115, v15, s24
	v_mov_b32_e32 v15, 0
	.loc	1 60 24                         ; persistent_matmul.py:60:24
	s_and_saveexec_b32 s8, s6
	s_cbranch_execz .LBB0_27
; %bb.26:
	.loc	1 0 24 is_stmt 0                ; persistent_matmul.py:0:24
	s_delay_alu instid0(VALU_DEP_2) | instskip(NEXT) | instid1(VALU_DEP_1)
	.loc	1 57 61 is_stmt 1               ; persistent_matmul.py:57:61
	v_add_nc_u32_e32 v16, v115, v19
	.loc	1 57 30 is_stmt 0               ; persistent_matmul.py:57:30
	v_ashrrev_i32_e32 v17, 31, v16
	s_delay_alu instid0(VALU_DEP_1) | instskip(NEXT) | instid1(VALU_DEP_1)
	v_lshlrev_b64 v[16:17], 1, v[16:17]
	v_add_co_u32 v16, vcc_lo, s26, v16
	s_delay_alu instid0(VALU_DEP_1)
	v_add_co_ci_u32_e64 v17, null, s27, v17, vcc_lo
	.loc	1 60 24 is_stmt 1               ; persistent_matmul.py:60:24
	global_load_u16 v16, v[16:17], off
.LBB0_27:
	.loc	1 0 24 is_stmt 0                ; persistent_matmul.py:0:24
	s_or_b32 exec_lo, exec_lo, s8
	.loc	1 47 41 is_stmt 1               ; persistent_matmul.py:47:41
	v_or_b32_e32 v106, 52, v84
	s_abs_i32 s8, s9
	s_delay_alu instid0(VALU_DEP_1) | instskip(NEXT) | instid1(VALU_DEP_1)
	.loc	1 47 28 is_stmt 0               ; persistent_matmul.py:47:28
	v_or_b32_e32 v17, s5, v106
	.loc	1 49 37 is_stmt 1               ; persistent_matmul.py:49:37
	v_cmp_gt_i32_e32 vcc_lo, s22, v17
	.loc	1 49 49 is_stmt 0               ; persistent_matmul.py:49:49
	v_cndmask_b32_e32 v17, 0, v17, vcc_lo
	s_delay_alu instid0(VALU_DEP_1)
	.loc	1 57 49 is_stmt 1               ; persistent_matmul.py:57:49
	v_mul_lo_u32 v117, v17, s24
	.loc	1 60 24                         ; persistent_matmul.py:60:24
	s_and_saveexec_b32 s10, s6
	s_cbranch_execz .LBB0_29
; %bb.28:
	.loc	1 0 24 is_stmt 0                ; persistent_matmul.py:0:24
	s_delay_alu instid0(VALU_DEP_1) | instskip(NEXT) | instid1(VALU_DEP_1)
	.loc	1 57 61 is_stmt 1               ; persistent_matmul.py:57:61
	v_add_nc_u32_e32 v17, v117, v19
	.loc	1 57 30 is_stmt 0               ; persistent_matmul.py:57:30
	v_ashrrev_i32_e32 v18, 31, v17
	s_delay_alu instid0(VALU_DEP_1) | instskip(NEXT) | instid1(VALU_DEP_1)
	v_lshlrev_b64 v[17:18], 1, v[17:18]
	v_add_co_u32 v17, vcc_lo, s26, v17
	s_delay_alu instid0(VALU_DEP_1)
	v_add_co_ci_u32_e64 v18, null, s27, v18, vcc_lo
	.loc	1 60 24 is_stmt 1               ; persistent_matmul.py:60:24
	global_load_u16 v15, v[17:18], off
.LBB0_29:
	.loc	1 0 24 is_stmt 0                ; persistent_matmul.py:0:24
	s_or_b32 exec_lo, exec_lo, s10
	.loc	1 47 41 is_stmt 1               ; persistent_matmul.py:47:41
	v_or_b32_e32 v108, 56, v84
	s_mul_hi_u32 s7, s8, s7
	v_mov_b32_e32 v18, 0
	s_delay_alu instid0(VALU_DEP_2) | instskip(NEXT) | instid1(VALU_DEP_1)
	.loc	1 47 28 is_stmt 0               ; persistent_matmul.py:47:28
	v_or_b32_e32 v17, s5, v108
	.loc	1 49 37 is_stmt 1               ; persistent_matmul.py:49:37
	v_cmp_gt_i32_e32 vcc_lo, s22, v17
	.loc	1 49 49 is_stmt 0               ; persistent_matmul.py:49:49
	v_cndmask_b32_e32 v17, 0, v17, vcc_lo
	s_delay_alu instid0(VALU_DEP_1)
	.loc	1 57 49 is_stmt 1               ; persistent_matmul.py:57:49
	v_mul_lo_u32 v119, v17, s24
	v_mov_b32_e32 v17, 0
	.loc	1 60 24                         ; persistent_matmul.py:60:24
	s_and_saveexec_b32 s10, s6
	s_cbranch_execz .LBB0_31
; %bb.30:
	.loc	1 0 24 is_stmt 0                ; persistent_matmul.py:0:24
	s_delay_alu instid0(VALU_DEP_2) | instskip(NEXT) | instid1(VALU_DEP_1)
	.loc	1 57 61 is_stmt 1               ; persistent_matmul.py:57:61
	v_add_nc_u32_e32 v20, v119, v19
	.loc	1 57 30 is_stmt 0               ; persistent_matmul.py:57:30
	v_ashrrev_i32_e32 v21, 31, v20
	s_delay_alu instid0(VALU_DEP_1) | instskip(NEXT) | instid1(VALU_DEP_1)
	v_lshlrev_b64 v[20:21], 1, v[20:21]
	v_add_co_u32 v20, vcc_lo, s26, v20
	s_delay_alu instid0(VALU_DEP_1)
	v_add_co_ci_u32_e64 v21, null, s27, v21, vcc_lo
	.loc	1 60 24 is_stmt 1               ; persistent_matmul.py:60:24
	global_load_u16 v18, v[20:21], off
.LBB0_31:
	.loc	1 0 24 is_stmt 0                ; persistent_matmul.py:0:24
	s_or_b32 exec_lo, exec_lo, s10
	.loc	1 47 41 is_stmt 1               ; persistent_matmul.py:47:41
	v_or_b32_e32 v110, 60, v84
	s_clause 0x1
	s_load_b64 s[28:29], s[0:1], 0x8
	s_load_b32 s40, s[0:1], 0x30
	s_ashr_i32 s4, s4, 31
	.loc	1 47 28 is_stmt 0               ; persistent_matmul.py:47:28
	v_or_b32_e32 v20, s5, v110
	s_ashr_i32 s5, s9, 31
	s_delay_alu instid0(VALU_DEP_1) | instskip(SKIP_1) | instid1(VALU_DEP_1)
	.loc	1 49 37 is_stmt 1               ; persistent_matmul.py:49:37
	v_cmp_gt_i32_e32 vcc_lo, s22, v20
	.loc	1 49 49 is_stmt 0               ; persistent_matmul.py:49:49
	v_cndmask_b32_e32 v20, 0, v20, vcc_lo
	.loc	1 57 49 is_stmt 1               ; persistent_matmul.py:57:49
	v_mul_lo_u32 v122, v20, s24
	.loc	1 60 24                         ; persistent_matmul.py:60:24
	s_and_saveexec_b32 s9, s6
	s_cbranch_execz .LBB0_33
; %bb.32:
	.loc	1 0 24 is_stmt 0                ; persistent_matmul.py:0:24
	s_delay_alu instid0(VALU_DEP_1) | instskip(NEXT) | instid1(VALU_DEP_1)
	.loc	1 57 61 is_stmt 1               ; persistent_matmul.py:57:61
	v_add_nc_u32_e32 v19, v122, v19
	.loc	1 57 30 is_stmt 0               ; persistent_matmul.py:57:30
	v_ashrrev_i32_e32 v20, 31, v19
	s_delay_alu instid0(VALU_DEP_1) | instskip(NEXT) | instid1(VALU_DEP_1)
	v_lshlrev_b64 v[19:20], 1, v[19:20]
	v_add_co_u32 v19, vcc_lo, s26, v19
	s_delay_alu instid0(VALU_DEP_1)
	v_add_co_ci_u32_e64 v20, null, s27, v20, vcc_lo
	.loc	1 60 24 is_stmt 1               ; persistent_matmul.py:60:24
	global_load_u16 v17, v[19:20], off
.LBB0_33:
	.loc	1 0 24 is_stmt 0                ; persistent_matmul.py:0:24
	s_or_b32 exec_lo, exec_lo, s9
.Ltmp31:
	.loc	1 14 44 is_stmt 1               ; persistent_matmul.py:14:44 @[ persistent_matmul.py:44:88 ]
	s_mul_i32 s6, s7, s3
	s_xor_b32 s4, s5, s4
	s_sub_i32 s5, s8, s6
	s_add_i32 s6, s7, 1
	s_sub_i32 s8, s5, s3
	s_cmp_ge_u32 s5, s3
	v_dual_mov_b32 v20, 0 :: v_dual_and_b32 v113, 63, v0
	s_cselect_b32 s6, s6, s7
	s_cselect_b32 s5, s8, s5
	s_add_i32 s7, s6, 1
	s_cmp_ge_u32 s5, s3
	s_load_b32 s42, s[0:1], 0x2c
	s_cselect_b32 s3, s7, s6
.Ltmp32:
	.loc	1 40 35                         ; persistent_matmul.py:40:35
	v_lshrrev_b32_e32 v114, 6, v1
.Ltmp33:
	.loc	1 14 44                         ; persistent_matmul.py:14:44 @[ persistent_matmul.py:44:88 ]
	s_xor_b32 s3, s3, s4
	s_delay_alu instid0(SALU_CYCLE_1) | instskip(NEXT) | instid1(SALU_CYCLE_1)
	s_sub_i32 s3, s3, s4
.Ltmp34:
	.loc	1 48 28                         ; persistent_matmul.py:48:28
	v_lshl_or_b32 v19, s3, 6, v113
	s_delay_alu instid0(VALU_DEP_1) | instskip(SKIP_3) | instid1(VALU_DEP_2)
	.loc	1 50 37                         ; persistent_matmul.py:50:37
	v_cmp_gt_i32_e32 vcc_lo, s23, v19
	.loc	1 50 49 is_stmt 0               ; persistent_matmul.py:50:49
	v_cndmask_b32_e32 v19, 0, v19, vcc_lo
	.loc	1 61 64 is_stmt 1               ; persistent_matmul.py:61:64
	v_cmp_gt_i32_e32 vcc_lo, s38, v114
	.loc	1 58 79                         ; persistent_matmul.py:58:79
	s_waitcnt lgkmcnt(0)
	v_mul_lo_u32 v64, v19, s40
	v_mov_b32_e32 v19, 0
	.loc	1 43 59                         ; persistent_matmul.py:43:59
	s_and_b32 s1, vcc_lo, s35
	s_delay_alu instid0(SALU_CYCLE_1)
	.loc	1 61 24                         ; persistent_matmul.py:61:24
	s_and_saveexec_b32 s0, s1
	s_cbranch_execz .LBB0_35
; %bb.34:
	.loc	1 0 24 is_stmt 0                ; persistent_matmul.py:0:24
	s_delay_alu instid0(VALU_DEP_2) | instskip(NEXT) | instid1(VALU_DEP_1)
	v_mad_u64_u32 v[20:21], null, s42, v114, v[64:65]
	v_ashrrev_i32_e32 v21, 31, v20
	s_delay_alu instid0(VALU_DEP_1) | instskip(NEXT) | instid1(VALU_DEP_1)
	v_lshlrev_b64 v[20:21], 1, v[20:21]
	v_add_co_u32 v20, vcc_lo, s28, v20
	s_delay_alu instid0(VALU_DEP_1)
	v_add_co_ci_u32_e64 v21, null, s29, v21, vcc_lo
	.loc	1 61 24                         ; persistent_matmul.py:61:24
	global_load_u16 v20, v[20:21], off
.LBB0_35:
	.loc	1 0 24                          ; persistent_matmul.py:0:24
	s_or_b32 exec_lo, exec_lo, s0
	.loc	1 40 35 is_stmt 1               ; persistent_matmul.py:40:35
	v_or_b32_e32 v116, 2, v114
	s_delay_alu instid0(VALU_DEP_1) | instskip(SKIP_1) | instid1(SALU_CYCLE_1)
	.loc	1 61 64                         ; persistent_matmul.py:61:64
	v_cmp_gt_i32_e32 vcc_lo, s38, v116
	.loc	1 43 59                         ; persistent_matmul.py:43:59
	s_and_b32 s1, vcc_lo, s35
	.loc	1 61 24                         ; persistent_matmul.py:61:24
	s_and_saveexec_b32 s0, s1
	s_cbranch_execz .LBB0_37
; %bb.36:
	.loc	1 58 60                         ; persistent_matmul.py:58:60
	v_mad_u64_u32 v[21:22], null, s42, v116, v[64:65]
	s_delay_alu instid0(VALU_DEP_1) | instskip(NEXT) | instid1(VALU_DEP_1)
	.loc	1 58 30 is_stmt 0               ; persistent_matmul.py:58:30
	v_ashrrev_i32_e32 v22, 31, v21
	v_lshlrev_b64 v[21:22], 1, v[21:22]
	s_delay_alu instid0(VALU_DEP_1) | instskip(NEXT) | instid1(VALU_DEP_1)
	v_add_co_u32 v21, vcc_lo, s28, v21
	v_add_co_ci_u32_e64 v22, null, s29, v22, vcc_lo
	.loc	1 61 24 is_stmt 1               ; persistent_matmul.py:61:24
	global_load_u16 v19, v[21:22], off
.LBB0_37:
	.loc	1 0 24 is_stmt 0                ; persistent_matmul.py:0:24
	s_or_b32 exec_lo, exec_lo, s0
	.loc	1 40 35 is_stmt 1               ; persistent_matmul.py:40:35
	v_or_b32_e32 v118, 4, v114
	v_dual_mov_b32 v21, 0 :: v_dual_mov_b32 v22, 0
	s_delay_alu instid0(VALU_DEP_2) | instskip(SKIP_1) | instid1(SALU_CYCLE_1)
	.loc	1 61 64                         ; persistent_matmul.py:61:64
	v_cmp_gt_i32_e32 vcc_lo, s38, v118
	.loc	1 43 59                         ; persistent_matmul.py:43:59
	s_and_b32 s1, vcc_lo, s35
	.loc	1 61 24                         ; persistent_matmul.py:61:24
	s_and_saveexec_b32 s0, s1
	s_cbranch_execz .LBB0_39
; %bb.38:
	.loc	1 58 60                         ; persistent_matmul.py:58:60
	v_mad_u64_u32 v[22:23], null, s42, v118, v[64:65]
	s_delay_alu instid0(VALU_DEP_1) | instskip(NEXT) | instid1(VALU_DEP_1)
	.loc	1 58 30 is_stmt 0               ; persistent_matmul.py:58:30
	v_ashrrev_i32_e32 v23, 31, v22
	v_lshlrev_b64 v[22:23], 1, v[22:23]
	s_delay_alu instid0(VALU_DEP_1) | instskip(NEXT) | instid1(VALU_DEP_1)
	v_add_co_u32 v22, vcc_lo, s28, v22
	v_add_co_ci_u32_e64 v23, null, s29, v23, vcc_lo
	.loc	1 61 24 is_stmt 1               ; persistent_matmul.py:61:24
	global_load_u16 v22, v[22:23], off
.LBB0_39:
	.loc	1 0 24 is_stmt 0                ; persistent_matmul.py:0:24
	s_or_b32 exec_lo, exec_lo, s0
	.loc	1 40 35 is_stmt 1               ; persistent_matmul.py:40:35
	v_or_b32_e32 v120, 6, v114
	s_delay_alu instid0(VALU_DEP_1) | instskip(SKIP_1) | instid1(SALU_CYCLE_1)
	.loc	1 61 64                         ; persistent_matmul.py:61:64
	v_cmp_gt_i32_e32 vcc_lo, s38, v120
	.loc	1 43 59                         ; persistent_matmul.py:43:59
	s_and_b32 s1, vcc_lo, s35
	.loc	1 61 24                         ; persistent_matmul.py:61:24
	s_and_saveexec_b32 s0, s1
	s_cbranch_execz .LBB0_41
; %bb.40:
	.loc	1 58 60                         ; persistent_matmul.py:58:60
	v_mad_u64_u32 v[23:24], null, s42, v120, v[64:65]
	s_delay_alu instid0(VALU_DEP_1) | instskip(NEXT) | instid1(VALU_DEP_1)
	.loc	1 58 30 is_stmt 0               ; persistent_matmul.py:58:30
	v_ashrrev_i32_e32 v24, 31, v23
	v_lshlrev_b64 v[23:24], 1, v[23:24]
	s_delay_alu instid0(VALU_DEP_1) | instskip(NEXT) | instid1(VALU_DEP_1)
	v_add_co_u32 v23, vcc_lo, s28, v23
	v_add_co_ci_u32_e64 v24, null, s29, v24, vcc_lo
	.loc	1 61 24 is_stmt 1               ; persistent_matmul.py:61:24
	global_load_u16 v21, v[23:24], off
.LBB0_41:
	.loc	1 0 24 is_stmt 0                ; persistent_matmul.py:0:24
	s_or_b32 exec_lo, exec_lo, s0
	.loc	1 40 35 is_stmt 1               ; persistent_matmul.py:40:35
	v_or_b32_e32 v121, 8, v114
	v_dual_mov_b32 v23, 0 :: v_dual_mov_b32 v24, 0
	s_delay_alu instid0(VALU_DEP_2) | instskip(SKIP_1) | instid1(SALU_CYCLE_1)
	.loc	1 61 64                         ; persistent_matmul.py:61:64
	v_cmp_gt_i32_e32 vcc_lo, s38, v121
	.loc	1 43 59                         ; persistent_matmul.py:43:59
	s_and_b32 s1, vcc_lo, s35
	.loc	1 61 24                         ; persistent_matmul.py:61:24
	s_and_saveexec_b32 s0, s1
	s_cbranch_execz .LBB0_43
; %bb.42:
	.loc	1 58 60                         ; persistent_matmul.py:58:60
	v_mad_u64_u32 v[24:25], null, s42, v121, v[64:65]
	s_delay_alu instid0(VALU_DEP_1) | instskip(NEXT) | instid1(VALU_DEP_1)
	.loc	1 58 30 is_stmt 0               ; persistent_matmul.py:58:30
	v_ashrrev_i32_e32 v25, 31, v24
	v_lshlrev_b64 v[24:25], 1, v[24:25]
	s_delay_alu instid0(VALU_DEP_1) | instskip(NEXT) | instid1(VALU_DEP_1)
	v_add_co_u32 v24, vcc_lo, s28, v24
	v_add_co_ci_u32_e64 v25, null, s29, v25, vcc_lo
	.loc	1 61 24 is_stmt 1               ; persistent_matmul.py:61:24
	global_load_u16 v24, v[24:25], off
.LBB0_43:
	.loc	1 0 24 is_stmt 0                ; persistent_matmul.py:0:24
	;; [unrolled: 51-line block ×7, first 2 shown]
	s_or_b32 exec_lo, exec_lo, s0
	.loc	1 40 35 is_stmt 1               ; persistent_matmul.py:40:35
	v_or_b32_e32 v137, 30, v114
	s_delay_alu instid0(VALU_DEP_1) | instskip(SKIP_1) | instid1(SALU_CYCLE_1)
	.loc	1 61 64                         ; persistent_matmul.py:61:64
	v_cmp_gt_i32_e32 vcc_lo, s38, v137
	.loc	1 43 59                         ; persistent_matmul.py:43:59
	s_and_b32 s1, vcc_lo, s35
	.loc	1 61 24                         ; persistent_matmul.py:61:24
	s_and_saveexec_b32 s0, s1
	s_cbranch_execz .LBB0_65
; %bb.64:
	.loc	1 58 60                         ; persistent_matmul.py:58:60
	v_mad_u64_u32 v[35:36], null, s42, v137, v[64:65]
	s_delay_alu instid0(VALU_DEP_1) | instskip(NEXT) | instid1(VALU_DEP_1)
	.loc	1 58 30 is_stmt 0               ; persistent_matmul.py:58:30
	v_ashrrev_i32_e32 v36, 31, v35
	v_lshlrev_b64 v[35:36], 1, v[35:36]
	s_delay_alu instid0(VALU_DEP_1) | instskip(NEXT) | instid1(VALU_DEP_1)
	v_add_co_u32 v35, vcc_lo, s28, v35
	v_add_co_ci_u32_e64 v36, null, s29, v36, vcc_lo
	.loc	1 61 24 is_stmt 1               ; persistent_matmul.py:61:24
	global_load_u16 v33, v[35:36], off
.LBB0_65:
	.loc	1 0 24 is_stmt 0                ; persistent_matmul.py:0:24
	s_or_b32 exec_lo, exec_lo, s0
	.loc	1 40 35 is_stmt 1               ; persistent_matmul.py:40:35
	v_cmp_eq_u32_e32 vcc_lo, 0, v1
	.loc	1 60 24                         ; persistent_matmul.py:60:24
	v_lshlrev_b32_e32 v35, 1, v113
	v_lshlrev_b32_e32 v127, 6, v83
	;; [unrolled: 1-line block ×4, first 2 shown]
	v_cndmask_b32_e64 v36, 0x90, 0, vcc_lo
	v_add_nc_u32_e32 v136, 0, v2
	.loc	1 43 59                         ; persistent_matmul.py:43:59
	s_add_i32 s43, s2, -1
	s_add_i32 s39, s39, -1
	s_mov_b32 s41, 0
	.loc	1 60 24                         ; persistent_matmul.py:60:24
	v_xor_b32_e32 v35, v36, v35
	.loc	1 61 24                         ; persistent_matmul.py:61:24
	v_lshlrev_b32_e32 v36, 1, v0
	.loc	1 43 59                         ; persistent_matmul.py:43:59
	s_cmp_lt_i32 s43, 1
	s_delay_alu instid0(VALU_DEP_2) | instskip(SKIP_1) | instid1(VALU_DEP_3)
	v_xor_b32_e32 v37, 32, v35
	.loc	1 60 24                         ; persistent_matmul.py:60:24
	v_add_nc_u32_e32 v138, 0, v35
	.loc	1 61 24                         ; persistent_matmul.py:61:24
	v_or_b32_e32 v35, 0x700, v36
	v_add_nc_u32_e32 v139, 0, v36
	s_delay_alu instid0(VALU_DEP_4)
	.loc	1 60 24                         ; persistent_matmul.py:60:24
	v_add_nc_u32_e32 v140, 0, v37
	s_waitcnt vmcnt(0)
	ds_store_b16 v138, v4
	ds_store_b16 v138, v6 offset:512
	ds_store_b16 v138, v8 offset:1024
	;; [unrolled: 1-line block ×15, first 2 shown]
	.loc	1 61 24                         ; persistent_matmul.py:61:24
	v_or_b32_e32 v3, 0xf00, v36
	v_add_nc_u32_e32 v141, 0, v35
	ds_store_b16 v139, v20 offset:4096
	ds_store_b16 v139, v19 offset:4352
	;; [unrolled: 1-line block ×8, first 2 shown]
	v_add_nc_u32_e32 v142, 0, v3
	ds_store_b16 v139, v27 offset:6400
	ds_store_b16 v139, v30 offset:6656
	;; [unrolled: 1-line block ×8, first 2 shown]
	s_cbranch_scc1 .LBB0_201
; %bb.66:                               ; %.lr.ph
	.loc	1 0 24 is_stmt 0                ; persistent_matmul.py:0:24
	v_mov_b32_e32 v24, 0
	v_and_b32_e32 v0, 48, v129
	v_lshl_add_u32 v144, v83, 1, v136
	.loc	1 38 28 is_stmt 1               ; persistent_matmul.py:38:28
	s_add_i32 s44, s15, 0xfffffed0
	s_mov_b32 s45, 0
	v_mov_b32_e32 v25, v24
	v_or3_b32 v143, v127, v0, v128
	s_mov_b32 s46, s15
	s_delay_alu instid0(VALU_DEP_1) | instskip(SKIP_2) | instid1(VALU_DEP_3)
	v_xor_b32_e32 v0, 16, v143
	v_xor_b32_e32 v1, 32, v143
	;; [unrolled: 1-line block ×3, first 2 shown]
	v_dual_mov_b32 v26, v24 :: v_dual_add_nc_u32 v145, 0, v0
	s_delay_alu instid0(VALU_DEP_2) | instskip(NEXT) | instid1(VALU_DEP_4)
	v_add_nc_u32_e32 v147, 0, v2
	v_dual_mov_b32 v27, v24 :: v_dual_add_nc_u32 v146, 0, v1
	v_mov_b32_e32 v28, v24
	v_mov_b32_e32 v29, v24
	;; [unrolled: 1-line block ×28, first 2 shown]
	s_branch .LBB0_69
.LBB0_67:                               ; %Flow175
                                        ;   in Loop: Header=BB0_69 Depth=1
	.loc	1 0 28 is_stmt 0                ; persistent_matmul.py:0:28
	s_or_b32 exec_lo, exec_lo, s0
.LBB0_68:                               ;   in Loop: Header=BB0_69 Depth=1
	.loc	1 43 59 is_stmt 1               ; persistent_matmul.py:43:59
	v_cndmask_b32_e64 v24, v24, 0, s47
	v_cndmask_b32_e64 v25, v25, 0, s47
	;; [unrolled: 1-line block ×32, first 2 shown]
	s_add_i32 s43, s43, -1
	.loc	1 60 24                         ; persistent_matmul.py:60:24
	s_waitcnt vmcnt(0)
	s_waitcnt_vscnt null, 0x0
	.loc	1 43 59                         ; persistent_matmul.py:43:59
	s_cmp_lg_u32 s43, 0
	.loc	1 60 24                         ; persistent_matmul.py:60:24
	s_barrier
	buffer_gl0_inv
	ds_store_b16 v138, v149
	ds_store_b16 v138, v151 offset:512
	ds_store_b16 v138, v153 offset:1024
	;; [unrolled: 1-line block ×15, first 2 shown]
	.loc	1 61 24                         ; persistent_matmul.py:61:24
	ds_store_b16 v139, v165 offset:4096
	ds_store_b16 v139, v164 offset:4352
	;; [unrolled: 1-line block ×16, first 2 shown]
	.loc	1 43 59                         ; persistent_matmul.py:43:59
	s_cbranch_scc0 .LBB0_200
.LBB0_69:                               ; =>This Inner Loop Header: Depth=1
	.loc	1 43 59                         ; persistent_matmul.py:43:59
	s_add_i32 s0, s41, 1
	s_cmp_eq_u32 s41, s39
	s_cselect_b32 s47, -1, 0
	s_delay_alu instid0(SALU_CYCLE_1) | instskip(SKIP_1) | instid1(SALU_CYCLE_1)
	s_and_b32 s1, s47, exec_lo
	s_cselect_b32 s41, 0, s0
	s_cmp_eq_u32 s41, 0
	s_cselect_b32 s0, -1, 0
	s_cmp_lg_u32 s41, 0
	s_cbranch_scc1 .LBB0_71
; %bb.70:                               ;   in Loop: Header=BB0_69 Depth=1
	s_addk_i32 s46, 0x130
	s_delay_alu instid0(SALU_CYCLE_1)
.Ltmp35:
	.loc	1 10 26                         ; persistent_matmul.py:10:26 @[ persistent_matmul.py:44:88 ]
	s_abs_i32 s1, s46
	s_ashr_i32 s3, s46, 31
	s_mul_hi_u32 s2, s1, s37
	s_xor_b32 s5, s3, s36
	s_mul_i32 s4, s2, s34
	s_add_i32 s6, s2, 1
	s_sub_i32 s4, s1, s4
	s_delay_alu instid0(SALU_CYCLE_1)
	s_sub_i32 s7, s4, s34
	s_cmp_ge_u32 s4, s34
	s_cselect_b32 s2, s6, s2
	s_cselect_b32 s4, s7, s4
	s_add_i32 s6, s2, 1
	s_cmp_ge_u32 s4, s34
	s_cselect_b32 s2, s6, s2
	s_delay_alu instid0(SALU_CYCLE_1) | instskip(NEXT) | instid1(SALU_CYCLE_1)
	s_xor_b32 s2, s2, s5
	s_sub_i32 s2, s2, s5
	s_delay_alu instid0(SALU_CYCLE_1) | instskip(SKIP_2) | instid1(SALU_CYCLE_1)
	.loc	1 11 29                         ; persistent_matmul.py:11:29 @[ persistent_matmul.py:44:88 ]
	s_lshl_b32 s4, s2, 3
	.loc	1 14 23                         ; persistent_matmul.py:14:23 @[ persistent_matmul.py:44:88 ]
	s_mul_i32 s2, s2, s33
	.loc	1 12 35                         ; persistent_matmul.py:12:35 @[ persistent_matmul.py:44:88 ]
	s_sub_i32 s5, s30, s4
	.loc	1 12 48 is_stmt 0               ; persistent_matmul.py:12:48 @[ persistent_matmul.py:44:88 ]
	s_min_i32 s5, s5, 8
	s_delay_alu instid0(SALU_CYCLE_1) | instskip(NEXT) | instid1(SALU_CYCLE_1)
	.loc	1 13 37 is_stmt 1               ; persistent_matmul.py:13:37 @[ persistent_matmul.py:44:88 ]
	s_abs_i32 s6, s5
	v_cvt_f32_u32_e32 v32, s6
	s_sub_i32 s8, 0, s6
	s_delay_alu instid0(VALU_DEP_1) | instskip(SKIP_2) | instid1(VALU_DEP_1)
	v_rcp_iflag_f32_e32 v32, v32
	s_waitcnt_depctr depctr_va_vdst(0)
	v_mul_f32_e32 v32, 0x4f7ffffe, v32
	v_cvt_u32_f32_e32 v32, v32
	s_delay_alu instid0(VALU_DEP_1) | instskip(SKIP_1) | instid1(SALU_CYCLE_1)
	v_readfirstlane_b32 s7, v32
	s_mul_i32 s8, s8, s7
	s_mul_hi_u32 s8, s7, s8
	s_delay_alu instid0(SALU_CYCLE_1) | instskip(NEXT) | instid1(SALU_CYCLE_1)
	s_add_i32 s7, s7, s8
	s_mul_hi_u32 s8, s1, s7
	s_delay_alu instid0(SALU_CYCLE_1) | instskip(NEXT) | instid1(SALU_CYCLE_1)
	s_mul_i32 s8, s8, s6
	s_sub_i32 s1, s1, s8
	s_delay_alu instid0(SALU_CYCLE_1) | instskip(SKIP_2) | instid1(SALU_CYCLE_1)
	s_sub_i32 s8, s1, s6
	s_cmp_ge_u32 s1, s6
	s_cselect_b32 s1, s8, s1
	s_sub_i32 s8, s1, s6
	s_cmp_ge_u32 s1, s6
	s_cselect_b32 s1, s8, s1
	.loc	1 14 23                         ; persistent_matmul.py:14:23 @[ persistent_matmul.py:44:88 ]
	s_sub_i32 s2, s46, s2
	.loc	1 13 37                         ; persistent_matmul.py:13:37 @[ persistent_matmul.py:44:88 ]
	s_xor_b32 s1, s1, s3
	.loc	1 14 44                         ; persistent_matmul.py:14:44 @[ persistent_matmul.py:44:88 ]
	s_xor_b32 s5, s2, s5
	s_abs_i32 s2, s2
	.loc	1 13 37                         ; persistent_matmul.py:13:37 @[ persistent_matmul.py:44:88 ]
	s_sub_i32 s1, s1, s3
	.loc	1 14 44                         ; persistent_matmul.py:14:44 @[ persistent_matmul.py:44:88 ]
	s_mul_hi_u32 s3, s2, s7
	.loc	1 13 27                         ; persistent_matmul.py:13:27 @[ persistent_matmul.py:44:88 ]
	s_add_i32 s4, s4, s1
	.loc	1 14 44                         ; persistent_matmul.py:14:44 @[ persistent_matmul.py:44:88 ]
	s_mul_i32 s7, s3, s6
	s_ashr_i32 s5, s5, 31
	s_sub_i32 s1, s2, s7
	s_add_i32 s2, s3, 1
	s_sub_i32 s7, s1, s6
	s_cmp_ge_u32 s1, s6
	s_cselect_b32 s2, s2, s3
	s_cselect_b32 s1, s7, s1
	s_add_i32 s3, s2, 1
	s_cmp_ge_u32 s1, s6
	s_cselect_b32 s1, s3, s2
.Ltmp36:
	.loc	1 45 26                         ; persistent_matmul.py:45:26
	s_lshl_b32 s2, s4, 6
.Ltmp37:
	.loc	1 14 44                         ; persistent_matmul.py:14:44 @[ persistent_matmul.py:44:88 ]
	s_xor_b32 s1, s1, s5
.Ltmp38:
	.loc	1 47 28                         ; persistent_matmul.py:47:28
	v_or_b32_e32 v32, s2, v84
	v_or_b32_e32 v33, s2, v86
	;; [unrolled: 1-line block ×5, first 2 shown]
	.loc	1 49 37                         ; persistent_matmul.py:49:37
	v_cmp_gt_i32_e32 vcc_lo, s22, v32
	.loc	1 47 28                         ; persistent_matmul.py:47:28
	v_or_b32_e32 v37, s2, v90
	v_or_b32_e32 v38, s2, v92
	;; [unrolled: 1-line block ×4, first 2 shown]
	.loc	1 49 49                         ; persistent_matmul.py:49:49
	v_cndmask_b32_e32 v32, 0, v32, vcc_lo
	.loc	1 49 37 is_stmt 0               ; persistent_matmul.py:49:37
	v_cmp_gt_i32_e32 vcc_lo, s22, v33
	.loc	1 47 28 is_stmt 1               ; persistent_matmul.py:47:28
	v_or_b32_e32 v41, s2, v98
	v_or_b32_e32 v42, s2, v100
	;; [unrolled: 1-line block ×4, first 2 shown]
	.loc	1 49 49                         ; persistent_matmul.py:49:49
	v_cndmask_b32_e32 v33, 0, v33, vcc_lo
	.loc	1 49 37 is_stmt 0               ; persistent_matmul.py:49:37
	v_cmp_gt_i32_e32 vcc_lo, s22, v34
	.loc	1 47 28 is_stmt 1               ; persistent_matmul.py:47:28
	v_or_b32_e32 v45, s2, v106
	v_or_b32_e32 v46, s2, v108
	;; [unrolled: 1-line block ×3, first 2 shown]
.Ltmp39:
	.loc	1 14 44                         ; persistent_matmul.py:14:44 @[ persistent_matmul.py:44:88 ]
	s_sub_i32 s1, s1, s5
.Ltmp40:
	.loc	1 49 49                         ; persistent_matmul.py:49:49
	v_cndmask_b32_e32 v34, 0, v34, vcc_lo
	.loc	1 49 37 is_stmt 0               ; persistent_matmul.py:49:37
	v_cmp_gt_i32_e32 vcc_lo, s22, v35
	.loc	1 48 28 is_stmt 1               ; persistent_matmul.py:48:28
	v_lshl_or_b32 v48, s1, 6, v113
	.loc	1 57 49                         ; persistent_matmul.py:57:49
	v_mul_lo_u32 v93, v33, s24
	.loc	1 49 49                         ; persistent_matmul.py:49:49
	v_cndmask_b32_e32 v35, 0, v35, vcc_lo
	.loc	1 49 37 is_stmt 0               ; persistent_matmul.py:49:37
	v_cmp_gt_i32_e32 vcc_lo, s22, v36
	.loc	1 57 49 is_stmt 1               ; persistent_matmul.py:57:49
	v_mul_lo_u32 v91, v32, s24
	s_delay_alu instid0(VALU_DEP_3)
	v_mul_lo_u32 v97, v35, s24
	.loc	1 49 49                         ; persistent_matmul.py:49:49
	v_cndmask_b32_e32 v36, 0, v36, vcc_lo
	.loc	1 49 37 is_stmt 0               ; persistent_matmul.py:49:37
	v_cmp_gt_i32_e32 vcc_lo, s22, v37
	.loc	1 49 49                         ; persistent_matmul.py:49:49
	v_cndmask_b32_e32 v37, 0, v37, vcc_lo
	.loc	1 49 37                         ; persistent_matmul.py:49:37
	v_cmp_gt_i32_e32 vcc_lo, s22, v38
	.loc	1 57 49 is_stmt 1               ; persistent_matmul.py:57:49
	v_mul_lo_u32 v95, v34, s24
	s_delay_alu instid0(VALU_DEP_3)
	v_mul_lo_u32 v101, v37, s24
	.loc	1 49 49                         ; persistent_matmul.py:49:49
	v_cndmask_b32_e32 v38, 0, v38, vcc_lo
	.loc	1 49 37 is_stmt 0               ; persistent_matmul.py:49:37
	v_cmp_gt_i32_e32 vcc_lo, s22, v39
	.loc	1 49 49                         ; persistent_matmul.py:49:49
	v_cndmask_b32_e32 v39, 0, v39, vcc_lo
	.loc	1 49 37                         ; persistent_matmul.py:49:37
	;; [unrolled: 12-line block ×5, first 2 shown]
	v_cmp_gt_i32_e32 vcc_lo, s22, v46
	.loc	1 57 49 is_stmt 1               ; persistent_matmul.py:57:49
	v_mul_lo_u32 v111, v42, s24
	s_delay_alu instid0(VALU_DEP_3) | instskip(SKIP_2) | instid1(VALU_DEP_2)
	v_mul_lo_u32 v117, v45, s24
	.loc	1 49 49                         ; persistent_matmul.py:49:49
	v_cndmask_b32_e32 v46, 0, v46, vcc_lo
	.loc	1 49 37 is_stmt 0               ; persistent_matmul.py:49:37
	v_cmp_gt_i32_e32 vcc_lo, s22, v47
	.loc	1 57 49 is_stmt 1               ; persistent_matmul.py:57:49
	v_mul_lo_u32 v119, v46, s24
	.loc	1 49 49                         ; persistent_matmul.py:49:49
	v_cndmask_b32_e32 v47, 0, v47, vcc_lo
	.loc	1 50 37                         ; persistent_matmul.py:50:37
	v_cmp_gt_i32_e32 vcc_lo, s23, v48
	.loc	1 57 49                         ; persistent_matmul.py:57:49
	v_mul_lo_u32 v115, v44, s24
	s_delay_alu instid0(VALU_DEP_3) | instskip(SKIP_1) | instid1(VALU_DEP_1)
	v_mul_lo_u32 v122, v47, s24
	.loc	1 50 49                         ; persistent_matmul.py:50:49
	v_cndmask_b32_e32 v48, 0, v48, vcc_lo
	.loc	1 58 79                         ; persistent_matmul.py:58:79
	v_mul_lo_u32 v64, v48, s40
.LBB0_71:                               ;   in Loop: Header=BB0_69 Depth=1
	.loc	1 43 59                         ; persistent_matmul.py:43:59
	s_add_i32 s1, s45, 1
	s_and_b32 s0, s0, exec_lo
	s_cselect_b32 s45, 0, s1
	v_dual_mov_b32 v148, 0 :: v_dual_mov_b32 v149, 0
	.loc	1 56 26                         ; persistent_matmul.py:56:26
	s_lshl_b32 s1, s45, 5
	s_delay_alu instid0(SALU_CYCLE_1) | instskip(SKIP_1) | instid1(SALU_CYCLE_1)
	.loc	1 56 41 is_stmt 0               ; persistent_matmul.py:56:41
	v_or_b32_e32 v32, s1, v85
	.loc	1 60 68 is_stmt 1               ; persistent_matmul.py:60:68
	s_sub_i32 s2, s38, s1
	.loc	1 60 64 is_stmt 0               ; persistent_matmul.py:60:64
	v_cmp_gt_i32_e32 vcc_lo, s2, v85
	s_delay_alu instid0(VALU_DEP_2)
	.loc	1 57 79 is_stmt 1               ; persistent_matmul.py:57:79
	v_mul_lo_u32 v32, v32, s25
	.loc	1 60 24                         ; persistent_matmul.py:60:24
	s_and_saveexec_b32 s3, vcc_lo
	s_cbranch_execz .LBB0_73
; %bb.72:                               ;   in Loop: Header=BB0_69 Depth=1
	.loc	1 0 24 is_stmt 0                ; persistent_matmul.py:0:24
	s_delay_alu instid0(VALU_DEP_1) | instskip(NEXT) | instid1(VALU_DEP_1)
	v_add_nc_u32_e32 v33, v91, v32
	v_ashrrev_i32_e32 v34, 31, v33
	s_delay_alu instid0(VALU_DEP_1) | instskip(NEXT) | instid1(VALU_DEP_1)
	v_lshlrev_b64 v[33:34], 1, v[33:34]
	v_add_co_u32 v33, s0, s26, v33
	s_delay_alu instid0(VALU_DEP_1)
	v_add_co_ci_u32_e64 v34, null, s27, v34, s0
	.loc	1 60 24                         ; persistent_matmul.py:60:24
	global_load_u16 v149, v[33:34], off
.LBB0_73:                               ;   in Loop: Header=BB0_69 Depth=1
	.loc	1 0 24                          ; persistent_matmul.py:0:24
	s_or_b32 exec_lo, exec_lo, s3
	.loc	1 60 24                         ; persistent_matmul.py:60:24
	s_and_saveexec_b32 s3, vcc_lo
	s_cbranch_execz .LBB0_75
; %bb.74:                               ;   in Loop: Header=BB0_69 Depth=1
	.loc	1 0 24                          ; persistent_matmul.py:0:24
	s_delay_alu instid0(VALU_DEP_1) | instskip(NEXT) | instid1(VALU_DEP_1)
	.loc	1 57 61 is_stmt 1               ; persistent_matmul.py:57:61
	v_add_nc_u32_e32 v33, v93, v32
	.loc	1 57 30 is_stmt 0               ; persistent_matmul.py:57:30
	v_ashrrev_i32_e32 v34, 31, v33
	s_delay_alu instid0(VALU_DEP_1) | instskip(NEXT) | instid1(VALU_DEP_1)
	v_lshlrev_b64 v[33:34], 1, v[33:34]
	v_add_co_u32 v33, s0, s26, v33
	s_delay_alu instid0(VALU_DEP_1)
	v_add_co_ci_u32_e64 v34, null, s27, v34, s0
	.loc	1 60 24 is_stmt 1               ; persistent_matmul.py:60:24
	global_load_u16 v148, v[33:34], off
.LBB0_75:                               ;   in Loop: Header=BB0_69 Depth=1
	.loc	1 0 24 is_stmt 0                ; persistent_matmul.py:0:24
	s_or_b32 exec_lo, exec_lo, s3
	v_dual_mov_b32 v150, 0 :: v_dual_mov_b32 v151, 0
	.loc	1 60 24                         ; persistent_matmul.py:60:24
	s_and_saveexec_b32 s3, vcc_lo
	s_cbranch_execz .LBB0_77
; %bb.76:                               ;   in Loop: Header=BB0_69 Depth=1
	.loc	1 57 61 is_stmt 1               ; persistent_matmul.py:57:61
	v_add_nc_u32_e32 v33, v95, v32
	s_delay_alu instid0(VALU_DEP_1) | instskip(NEXT) | instid1(VALU_DEP_1)
	.loc	1 57 30 is_stmt 0               ; persistent_matmul.py:57:30
	v_ashrrev_i32_e32 v34, 31, v33
	v_lshlrev_b64 v[33:34], 1, v[33:34]
	s_delay_alu instid0(VALU_DEP_1) | instskip(NEXT) | instid1(VALU_DEP_1)
	v_add_co_u32 v33, s0, s26, v33
	v_add_co_ci_u32_e64 v34, null, s27, v34, s0
	.loc	1 60 24 is_stmt 1               ; persistent_matmul.py:60:24
	global_load_u16 v151, v[33:34], off
.LBB0_77:                               ;   in Loop: Header=BB0_69 Depth=1
	.loc	1 0 24 is_stmt 0                ; persistent_matmul.py:0:24
	s_or_b32 exec_lo, exec_lo, s3
	.loc	1 60 24                         ; persistent_matmul.py:60:24
	s_and_saveexec_b32 s3, vcc_lo
	s_cbranch_execz .LBB0_79
; %bb.78:                               ;   in Loop: Header=BB0_69 Depth=1
	.loc	1 57 61 is_stmt 1               ; persistent_matmul.py:57:61
	v_add_nc_u32_e32 v33, v97, v32
	s_delay_alu instid0(VALU_DEP_1) | instskip(NEXT) | instid1(VALU_DEP_1)
	.loc	1 57 30 is_stmt 0               ; persistent_matmul.py:57:30
	v_ashrrev_i32_e32 v34, 31, v33
	v_lshlrev_b64 v[33:34], 1, v[33:34]
	s_delay_alu instid0(VALU_DEP_1) | instskip(NEXT) | instid1(VALU_DEP_1)
	v_add_co_u32 v33, s0, s26, v33
	v_add_co_ci_u32_e64 v34, null, s27, v34, s0
	.loc	1 60 24 is_stmt 1               ; persistent_matmul.py:60:24
	global_load_u16 v150, v[33:34], off
.LBB0_79:                               ;   in Loop: Header=BB0_69 Depth=1
	.loc	1 0 24 is_stmt 0                ; persistent_matmul.py:0:24
	s_or_b32 exec_lo, exec_lo, s3
	v_dual_mov_b32 v152, 0 :: v_dual_mov_b32 v153, 0
	.loc	1 60 24                         ; persistent_matmul.py:60:24
	s_and_saveexec_b32 s3, vcc_lo
	s_cbranch_execz .LBB0_81
; %bb.80:                               ;   in Loop: Header=BB0_69 Depth=1
	.loc	1 57 61 is_stmt 1               ; persistent_matmul.py:57:61
	v_add_nc_u32_e32 v33, v99, v32
	s_delay_alu instid0(VALU_DEP_1) | instskip(NEXT) | instid1(VALU_DEP_1)
	.loc	1 57 30 is_stmt 0               ; persistent_matmul.py:57:30
	v_ashrrev_i32_e32 v34, 31, v33
	v_lshlrev_b64 v[33:34], 1, v[33:34]
	s_delay_alu instid0(VALU_DEP_1) | instskip(NEXT) | instid1(VALU_DEP_1)
	v_add_co_u32 v33, s0, s26, v33
	v_add_co_ci_u32_e64 v34, null, s27, v34, s0
	.loc	1 60 24 is_stmt 1               ; persistent_matmul.py:60:24
	global_load_u16 v153, v[33:34], off
.LBB0_81:                               ;   in Loop: Header=BB0_69 Depth=1
	.loc	1 0 24 is_stmt 0                ; persistent_matmul.py:0:24
	s_or_b32 exec_lo, exec_lo, s3
	.loc	1 60 24                         ; persistent_matmul.py:60:24
	s_and_saveexec_b32 s3, vcc_lo
	s_cbranch_execz .LBB0_83
; %bb.82:                               ;   in Loop: Header=BB0_69 Depth=1
	.loc	1 57 61 is_stmt 1               ; persistent_matmul.py:57:61
	v_add_nc_u32_e32 v33, v101, v32
	s_delay_alu instid0(VALU_DEP_1) | instskip(NEXT) | instid1(VALU_DEP_1)
	.loc	1 57 30 is_stmt 0               ; persistent_matmul.py:57:30
	v_ashrrev_i32_e32 v34, 31, v33
	v_lshlrev_b64 v[33:34], 1, v[33:34]
	s_delay_alu instid0(VALU_DEP_1) | instskip(NEXT) | instid1(VALU_DEP_1)
	v_add_co_u32 v33, s0, s26, v33
	v_add_co_ci_u32_e64 v34, null, s27, v34, s0
	.loc	1 60 24 is_stmt 1               ; persistent_matmul.py:60:24
	global_load_u16 v152, v[33:34], off
.LBB0_83:                               ;   in Loop: Header=BB0_69 Depth=1
	;; [unrolled: 37-line block ×6, first 2 shown]
	.loc	1 0 24 is_stmt 0                ; persistent_matmul.py:0:24
	s_or_b32 exec_lo, exec_lo, s3
	v_dual_mov_b32 v162, 0 :: v_dual_mov_b32 v163, 0
	.loc	1 60 24                         ; persistent_matmul.py:60:24
	s_and_saveexec_b32 s3, vcc_lo
	s_cbranch_execz .LBB0_101
; %bb.100:                              ;   in Loop: Header=BB0_69 Depth=1
	.loc	1 57 61 is_stmt 1               ; persistent_matmul.py:57:61
	v_add_nc_u32_e32 v33, v119, v32
	s_delay_alu instid0(VALU_DEP_1) | instskip(NEXT) | instid1(VALU_DEP_1)
	.loc	1 57 30 is_stmt 0               ; persistent_matmul.py:57:30
	v_ashrrev_i32_e32 v34, 31, v33
	v_lshlrev_b64 v[33:34], 1, v[33:34]
	s_delay_alu instid0(VALU_DEP_1) | instskip(NEXT) | instid1(VALU_DEP_1)
	v_add_co_u32 v33, s0, s26, v33
	v_add_co_ci_u32_e64 v34, null, s27, v34, s0
	.loc	1 60 24 is_stmt 1               ; persistent_matmul.py:60:24
	global_load_u16 v163, v[33:34], off
.LBB0_101:                              ;   in Loop: Header=BB0_69 Depth=1
	.loc	1 0 24 is_stmt 0                ; persistent_matmul.py:0:24
	s_or_b32 exec_lo, exec_lo, s3
	.loc	1 60 24                         ; persistent_matmul.py:60:24
	s_and_saveexec_b32 s0, vcc_lo
	s_cbranch_execz .LBB0_103
; %bb.102:                              ;   in Loop: Header=BB0_69 Depth=1
	.loc	1 57 61 is_stmt 1               ; persistent_matmul.py:57:61
	v_add_nc_u32_e32 v32, v122, v32
	s_delay_alu instid0(VALU_DEP_1) | instskip(NEXT) | instid1(VALU_DEP_1)
	.loc	1 57 30 is_stmt 0               ; persistent_matmul.py:57:30
	v_ashrrev_i32_e32 v33, 31, v32
	v_lshlrev_b64 v[32:33], 1, v[32:33]
	s_delay_alu instid0(VALU_DEP_1) | instskip(NEXT) | instid1(VALU_DEP_1)
	v_add_co_u32 v32, vcc_lo, s26, v32
	v_add_co_ci_u32_e64 v33, null, s27, v33, vcc_lo
	.loc	1 60 24 is_stmt 1               ; persistent_matmul.py:60:24
	global_load_u16 v162, v[32:33], off
.LBB0_103:                              ;   in Loop: Header=BB0_69 Depth=1
	.loc	1 0 24 is_stmt 0                ; persistent_matmul.py:0:24
	s_or_b32 exec_lo, exec_lo, s0
	v_dual_mov_b32 v165, 0 :: v_dual_add_nc_u32 v32, 0, v143
	.loc	1 60 24                         ; persistent_matmul.py:60:24
	s_waitcnt vmcnt(0) lgkmcnt(0)
	s_barrier
	buffer_gl0_inv
	ds_load_b128 v[48:51], v32
	ds_load_b128 v[56:59], v32 offset:2048
	ds_load_b128 v[52:55], v145
	ds_load_b128 v[60:63], v145 offset:2048
	ds_load_b128 v[32:35], v146
	ds_load_b128 v[40:43], v146 offset:2048
	ds_load_b128 v[36:39], v147
	ds_load_b128 v[44:47], v147 offset:2048
	v_mov_b32_e32 v164, 0
	.loc	1 61 24 is_stmt 1               ; persistent_matmul.py:61:24
	s_mov_b32 s0, exec_lo
	.loc	1 61 64 is_stmt 0               ; persistent_matmul.py:61:64
	v_cmpx_gt_i32_e64 s2, v114
	.loc	1 61 24                         ; persistent_matmul.py:61:24
	s_cbranch_execz .LBB0_105
; %bb.104:                              ;   in Loop: Header=BB0_69 Depth=1
	.loc	1 56 41 is_stmt 1               ; persistent_matmul.py:56:41
	v_or_b32_e32 v167, s1, v114
	s_delay_alu instid0(VALU_DEP_1) | instskip(NEXT) | instid1(VALU_DEP_1)
	.loc	1 58 60                         ; persistent_matmul.py:58:60
	v_mad_u64_u32 v[165:166], null, v167, s42, v[64:65]
	.loc	1 58 30 is_stmt 0               ; persistent_matmul.py:58:30
	v_ashrrev_i32_e32 v166, 31, v165
	s_delay_alu instid0(VALU_DEP_1) | instskip(NEXT) | instid1(VALU_DEP_1)
	v_lshlrev_b64 v[165:166], 1, v[165:166]
	v_add_co_u32 v165, vcc_lo, s28, v165
	s_delay_alu instid0(VALU_DEP_1)
	v_add_co_ci_u32_e64 v166, null, s29, v166, vcc_lo
	.loc	1 61 24 is_stmt 1               ; persistent_matmul.py:61:24
	global_load_u16 v165, v[165:166], off
.LBB0_105:                              ;   in Loop: Header=BB0_69 Depth=1
	.loc	1 0 24 is_stmt 0                ; persistent_matmul.py:0:24
	s_or_b32 exec_lo, exec_lo, s0
	s_delay_alu instid0(SALU_CYCLE_1)
	.loc	1 61 24                         ; persistent_matmul.py:61:24
	s_mov_b32 s0, exec_lo
	.loc	1 61 64                         ; persistent_matmul.py:61:64
	v_cmpx_gt_i32_e64 s2, v116
	.loc	1 61 24                         ; persistent_matmul.py:61:24
	s_cbranch_execz .LBB0_107
; %bb.106:                              ;   in Loop: Header=BB0_69 Depth=1
	.loc	1 56 41 is_stmt 1               ; persistent_matmul.py:56:41
	v_or_b32_e32 v164, s1, v116
	s_delay_alu instid0(VALU_DEP_1) | instskip(NEXT) | instid1(VALU_DEP_1)
	.loc	1 58 60                         ; persistent_matmul.py:58:60
	v_mad_u64_u32 v[166:167], null, v164, s42, v[64:65]
	.loc	1 58 30 is_stmt 0               ; persistent_matmul.py:58:30
	v_ashrrev_i32_e32 v167, 31, v166
	s_delay_alu instid0(VALU_DEP_1) | instskip(NEXT) | instid1(VALU_DEP_1)
	v_lshlrev_b64 v[166:167], 1, v[166:167]
	v_add_co_u32 v166, vcc_lo, s28, v166
	s_delay_alu instid0(VALU_DEP_1)
	v_add_co_ci_u32_e64 v167, null, s29, v167, vcc_lo
	.loc	1 61 24 is_stmt 1               ; persistent_matmul.py:61:24
	global_load_u16 v164, v[166:167], off
.LBB0_107:                              ;   in Loop: Header=BB0_69 Depth=1
	.loc	1 0 24 is_stmt 0                ; persistent_matmul.py:0:24
	s_or_b32 exec_lo, exec_lo, s0
	v_dual_mov_b32 v166, 0 :: v_dual_mov_b32 v167, 0
	.loc	1 61 24                         ; persistent_matmul.py:61:24
	s_mov_b32 s0, exec_lo
	.loc	1 61 64                         ; persistent_matmul.py:61:64
	v_cmpx_gt_i32_e64 s2, v118
	.loc	1 61 24                         ; persistent_matmul.py:61:24
	s_cbranch_execz .LBB0_109
; %bb.108:                              ;   in Loop: Header=BB0_69 Depth=1
	.loc	1 56 41 is_stmt 1               ; persistent_matmul.py:56:41
	v_or_b32_e32 v169, s1, v118
	s_delay_alu instid0(VALU_DEP_1) | instskip(NEXT) | instid1(VALU_DEP_1)
	.loc	1 58 60                         ; persistent_matmul.py:58:60
	v_mad_u64_u32 v[167:168], null, v169, s42, v[64:65]
	.loc	1 58 30 is_stmt 0               ; persistent_matmul.py:58:30
	v_ashrrev_i32_e32 v168, 31, v167
	s_delay_alu instid0(VALU_DEP_1) | instskip(NEXT) | instid1(VALU_DEP_1)
	v_lshlrev_b64 v[167:168], 1, v[167:168]
	v_add_co_u32 v167, vcc_lo, s28, v167
	s_delay_alu instid0(VALU_DEP_1)
	v_add_co_ci_u32_e64 v168, null, s29, v168, vcc_lo
	.loc	1 61 24 is_stmt 1               ; persistent_matmul.py:61:24
	global_load_u16 v167, v[167:168], off
.LBB0_109:                              ;   in Loop: Header=BB0_69 Depth=1
	.loc	1 0 24 is_stmt 0                ; persistent_matmul.py:0:24
	s_or_b32 exec_lo, exec_lo, s0
	s_delay_alu instid0(SALU_CYCLE_1)
	.loc	1 61 24                         ; persistent_matmul.py:61:24
	s_mov_b32 s0, exec_lo
	.loc	1 61 64                         ; persistent_matmul.py:61:64
	v_cmpx_gt_i32_e64 s2, v120
	.loc	1 61 24                         ; persistent_matmul.py:61:24
	s_cbranch_execz .LBB0_111
; %bb.110:                              ;   in Loop: Header=BB0_69 Depth=1
	.loc	1 56 41 is_stmt 1               ; persistent_matmul.py:56:41
	v_or_b32_e32 v166, s1, v120
	s_delay_alu instid0(VALU_DEP_1) | instskip(NEXT) | instid1(VALU_DEP_1)
	.loc	1 58 60                         ; persistent_matmul.py:58:60
	v_mad_u64_u32 v[168:169], null, v166, s42, v[64:65]
	.loc	1 58 30 is_stmt 0               ; persistent_matmul.py:58:30
	v_ashrrev_i32_e32 v169, 31, v168
	s_delay_alu instid0(VALU_DEP_1) | instskip(NEXT) | instid1(VALU_DEP_1)
	v_lshlrev_b64 v[168:169], 1, v[168:169]
	v_add_co_u32 v168, vcc_lo, s28, v168
	s_delay_alu instid0(VALU_DEP_1)
	v_add_co_ci_u32_e64 v169, null, s29, v169, vcc_lo
	.loc	1 61 24 is_stmt 1               ; persistent_matmul.py:61:24
	global_load_u16 v166, v[168:169], off
.LBB0_111:                              ;   in Loop: Header=BB0_69 Depth=1
	.loc	1 0 24 is_stmt 0                ; persistent_matmul.py:0:24
	s_or_b32 exec_lo, exec_lo, s0
	v_dual_mov_b32 v168, 0 :: v_dual_mov_b32 v169, 0
	.loc	1 61 24                         ; persistent_matmul.py:61:24
	s_mov_b32 s0, exec_lo
	.loc	1 61 64                         ; persistent_matmul.py:61:64
	;; [unrolled: 50-line block ×7, first 2 shown]
	v_cmpx_gt_i32_e64 s2, v135
	.loc	1 61 24                         ; persistent_matmul.py:61:24
	s_cbranch_execz .LBB0_133
; %bb.132:                              ;   in Loop: Header=BB0_69 Depth=1
	.loc	1 56 41 is_stmt 1               ; persistent_matmul.py:56:41
	v_or_b32_e32 v181, s1, v135
	s_delay_alu instid0(VALU_DEP_1) | instskip(NEXT) | instid1(VALU_DEP_1)
	.loc	1 58 60                         ; persistent_matmul.py:58:60
	v_mad_u64_u32 v[179:180], null, v181, s42, v[64:65]
	.loc	1 58 30 is_stmt 0               ; persistent_matmul.py:58:30
	v_ashrrev_i32_e32 v180, 31, v179
	s_delay_alu instid0(VALU_DEP_1) | instskip(NEXT) | instid1(VALU_DEP_1)
	v_lshlrev_b64 v[179:180], 1, v[179:180]
	v_add_co_u32 v179, vcc_lo, s28, v179
	s_delay_alu instid0(VALU_DEP_1)
	v_add_co_ci_u32_e64 v180, null, s29, v180, vcc_lo
	.loc	1 61 24 is_stmt 1               ; persistent_matmul.py:61:24
	global_load_u16 v179, v[179:180], off
.LBB0_133:                              ;   in Loop: Header=BB0_69 Depth=1
	.loc	1 0 24 is_stmt 0                ; persistent_matmul.py:0:24
	s_or_b32 exec_lo, exec_lo, s0
	s_delay_alu instid0(SALU_CYCLE_1)
	.loc	1 61 24                         ; persistent_matmul.py:61:24
	s_mov_b32 s0, exec_lo
	.loc	1 61 64                         ; persistent_matmul.py:61:64
	v_cmpx_gt_i32_e64 s2, v137
	.loc	1 61 24                         ; persistent_matmul.py:61:24
	s_cbranch_execz .LBB0_135
; %bb.134:                              ;   in Loop: Header=BB0_69 Depth=1
	.loc	1 56 41 is_stmt 1               ; persistent_matmul.py:56:41
	v_or_b32_e32 v178, s1, v137
	s_delay_alu instid0(VALU_DEP_1) | instskip(NEXT) | instid1(VALU_DEP_1)
	.loc	1 58 60                         ; persistent_matmul.py:58:60
	v_mad_u64_u32 v[180:181], null, v178, s42, v[64:65]
	.loc	1 58 30 is_stmt 0               ; persistent_matmul.py:58:30
	v_ashrrev_i32_e32 v181, 31, v180
	s_delay_alu instid0(VALU_DEP_1) | instskip(NEXT) | instid1(VALU_DEP_1)
	v_lshlrev_b64 v[180:181], 1, v[180:181]
	v_add_co_u32 v180, vcc_lo, s28, v180
	s_delay_alu instid0(VALU_DEP_1)
	v_add_co_ci_u32_e64 v181, null, s29, v181, vcc_lo
	.loc	1 61 24 is_stmt 1               ; persistent_matmul.py:61:24
	global_load_u16 v178, v[180:181], off
.LBB0_135:                              ;   in Loop: Header=BB0_69 Depth=1
	.loc	1 0 24 is_stmt 0                ; persistent_matmul.py:0:24
	s_or_b32 exec_lo, exec_lo, s0
	.loc	1 61 24                         ; persistent_matmul.py:61:24
	ds_load_u16 v185, v144 offset:5440
	ds_load_u16 v194, v144 offset:5632
	;; [unrolled: 1-line block ×21, first 2 shown]
	.loc	1 43 59 is_stmt 1               ; persistent_matmul.py:43:59
	s_and_not1_b32 vcc_lo, exec_lo, s47
	.loc	1 61 24                         ; persistent_matmul.py:61:24
	s_waitcnt lgkmcnt(19)
	ds_load_u16_d16_hi v194, v144 offset:5760
	ds_load_u16_d16_hi v185, v144 offset:5568
	s_waitcnt lgkmcnt(20)
	ds_load_u16_d16_hi v189, v144 offset:4480
	ds_load_u16 v182, v144 offset:4672
	ds_load_u16 v183, v144 offset:4928
	;; [unrolled: 1-line block ×3, first 2 shown]
	s_waitcnt lgkmcnt(19)
	ds_load_u16_d16_hi v188, v144 offset:4224
	s_waitcnt lgkmcnt(19)
	ds_load_u16_d16_hi v180, v144 offset:4288
	ds_load_u16 v181, v144 offset:4416
	s_waitcnt lgkmcnt(20)
	ds_load_u16_d16_hi v200, v144 offset:7296
	s_waitcnt lgkmcnt(20)
	ds_load_u16_d16_hi v207, v144 offset:7104
	;; [unrolled: 2-line block ×3, first 2 shown]
	ds_load_u16 v204, v144 offset:6208
	ds_load_u16 v205, v144 offset:6464
	;; [unrolled: 1-line block ×3, first 2 shown]
	s_waitcnt lgkmcnt(19)
	ds_load_u16_d16_hi v186, v144 offset:5824
	ds_load_u16 v187, v144 offset:5952
	s_waitcnt lgkmcnt(20)
	ds_load_u16_d16_hi v201, v144 offset:7552
	ds_load_u16 v210, v144 offset:7744
	ds_load_u16 v211, v144 offset:8000
	s_waitcnt lgkmcnt(20)
	ds_load_u16_d16_hi v208, v144 offset:7360
	ds_load_u16 v209, v144 offset:7488
	ds_load_u16_d16_hi v190, v144 offset:4736
	ds_load_u16_d16_hi v191, v144 offset:4992
	;; [unrolled: 1-line block ×4, first 2 shown]
	s_waitcnt lgkmcnt(20)
	ds_load_u16_d16_hi v184, v144 offset:5312
	ds_load_u16_d16_hi v183, v144 offset:5056
	;; [unrolled: 1-line block ×3, first 2 shown]
	s_waitcnt lgkmcnt(20)
	ds_load_u16_d16_hi v181, v144 offset:4544
	ds_load_u16_d16_hi v196, v144 offset:6272
	;; [unrolled: 1-line block ×5, first 2 shown]
	s_waitcnt lgkmcnt(19)
	ds_load_u16_d16_hi v206, v144 offset:6848
	ds_load_u16_d16_hi v205, v144 offset:6592
	;; [unrolled: 1-line block ×3, first 2 shown]
	s_waitcnt lgkmcnt(20)
	ds_load_u16_d16_hi v187, v144 offset:6080
	ds_load_u16_d16_hi v202, v144 offset:7808
	;; [unrolled: 1-line block ×3, first 2 shown]
	s_waitcnt lgkmcnt(20)
	ds_load_u16_d16_hi v211, v144 offset:8128
	ds_load_u16_d16_hi v210, v144 offset:7872
	s_waitcnt lgkmcnt(20)
	ds_load_u16_d16_hi v209, v144 offset:7616
	.loc	1 62 39                         ; persistent_matmul.py:62:39
	s_waitcnt lgkmcnt(17)
	v_wmma_f32_16x16x16_f16 v[24:31], v[188:195], v[48:55], v[24:31]
	v_wmma_f32_16x16x16_f16 v[8:15], v[188:195], v[56:63], v[8:15]
	s_waitcnt lgkmcnt(5)
	v_wmma_f32_16x16x16_f16 v[16:23], v[180:187], v[48:55], v[16:23]
	v_wmma_f32_16x16x16_f16 v[0:7], v[180:187], v[56:63], v[0:7]
	;; [unrolled: 3-line block ×4, first 2 shown]
	.loc	1 43 59                         ; persistent_matmul.py:43:59
	s_cbranch_vccnz .LBB0_68
; %bb.136:                              ;   in Loop: Header=BB0_69 Depth=1
	.loc	1 64 21                         ; persistent_matmul.py:64:21
	s_addk_i32 s44, 0x130
	s_delay_alu instid0(SALU_CYCLE_1)
.Ltmp41:
	.loc	1 10 26                         ; persistent_matmul.py:10:26 @[ persistent_matmul.py:65:90 ]
	s_abs_i32 s0, s44
	s_ashr_i32 s2, s44, 31
	s_mul_hi_u32 s1, s0, s37
	s_xor_b32 s4, s2, s36
	s_mul_i32 s3, s1, s34
	s_add_i32 s5, s1, 1
	s_sub_i32 s3, s0, s3
	s_delay_alu instid0(SALU_CYCLE_1)
	s_sub_i32 s6, s3, s34
	s_cmp_ge_u32 s3, s34
	s_cselect_b32 s1, s5, s1
	s_cselect_b32 s3, s6, s3
	s_add_i32 s5, s1, 1
	s_cmp_ge_u32 s3, s34
	s_cselect_b32 s1, s5, s1
	s_delay_alu instid0(SALU_CYCLE_1) | instskip(NEXT) | instid1(SALU_CYCLE_1)
	s_xor_b32 s1, s1, s4
	s_sub_i32 s1, s1, s4
	s_delay_alu instid0(SALU_CYCLE_1) | instskip(SKIP_2) | instid1(SALU_CYCLE_1)
	.loc	1 11 29                         ; persistent_matmul.py:11:29 @[ persistent_matmul.py:65:90 ]
	s_lshl_b32 s3, s1, 3
	.loc	1 14 23                         ; persistent_matmul.py:14:23 @[ persistent_matmul.py:65:90 ]
	s_mul_i32 s1, s1, s33
	.loc	1 12 35                         ; persistent_matmul.py:12:35 @[ persistent_matmul.py:65:90 ]
	s_sub_i32 s4, s30, s3
	.loc	1 12 48 is_stmt 0               ; persistent_matmul.py:12:48 @[ persistent_matmul.py:65:90 ]
	s_min_i32 s4, s4, 8
	s_delay_alu instid0(SALU_CYCLE_1) | instskip(NEXT) | instid1(SALU_CYCLE_1)
	.loc	1 13 37 is_stmt 1               ; persistent_matmul.py:13:37 @[ persistent_matmul.py:65:90 ]
	s_abs_i32 s5, s4
	v_cvt_f32_u32_e32 v32, s5
	s_sub_i32 s7, 0, s5
	s_delay_alu instid0(VALU_DEP_1) | instskip(SKIP_2) | instid1(VALU_DEP_1)
	v_rcp_iflag_f32_e32 v32, v32
	s_waitcnt_depctr depctr_va_vdst(0)
	v_mul_f32_e32 v32, 0x4f7ffffe, v32
	v_cvt_u32_f32_e32 v32, v32
	s_delay_alu instid0(VALU_DEP_1) | instskip(SKIP_1) | instid1(SALU_CYCLE_1)
	v_readfirstlane_b32 s6, v32
	s_mul_i32 s7, s7, s6
	s_mul_hi_u32 s7, s6, s7
	s_delay_alu instid0(SALU_CYCLE_1) | instskip(NEXT) | instid1(SALU_CYCLE_1)
	s_add_i32 s6, s6, s7
	s_mul_hi_u32 s7, s0, s6
	s_delay_alu instid0(SALU_CYCLE_1) | instskip(NEXT) | instid1(SALU_CYCLE_1)
	s_mul_i32 s7, s7, s5
	s_sub_i32 s0, s0, s7
	s_delay_alu instid0(SALU_CYCLE_1) | instskip(SKIP_2) | instid1(SALU_CYCLE_1)
	s_sub_i32 s7, s0, s5
	s_cmp_ge_u32 s0, s5
	s_cselect_b32 s0, s7, s0
	s_sub_i32 s7, s0, s5
	s_cmp_ge_u32 s0, s5
	s_cselect_b32 s0, s7, s0
	.loc	1 14 23                         ; persistent_matmul.py:14:23 @[ persistent_matmul.py:65:90 ]
	s_sub_i32 s1, s44, s1
	.loc	1 13 37                         ; persistent_matmul.py:13:37 @[ persistent_matmul.py:65:90 ]
	s_xor_b32 s0, s0, s2
	.loc	1 14 44                         ; persistent_matmul.py:14:44 @[ persistent_matmul.py:65:90 ]
	s_xor_b32 s4, s1, s4
	s_abs_i32 s1, s1
	.loc	1 13 37                         ; persistent_matmul.py:13:37 @[ persistent_matmul.py:65:90 ]
	s_sub_i32 s0, s0, s2
	.loc	1 14 44                         ; persistent_matmul.py:14:44 @[ persistent_matmul.py:65:90 ]
	s_mul_hi_u32 s2, s1, s6
	.loc	1 13 27                         ; persistent_matmul.py:13:27 @[ persistent_matmul.py:65:90 ]
	s_add_i32 s3, s3, s0
	.loc	1 14 44                         ; persistent_matmul.py:14:44 @[ persistent_matmul.py:65:90 ]
	s_mul_i32 s6, s2, s5
	s_ashr_i32 s4, s4, 31
	s_sub_i32 s0, s1, s6
	s_add_i32 s1, s2, 1
	s_sub_i32 s6, s0, s5
	s_cmp_ge_u32 s0, s5
	s_cselect_b32 s1, s1, s2
	s_cselect_b32 s0, s6, s0
	s_add_i32 s2, s1, 1
	s_cmp_ge_u32 s0, s5
	s_cselect_b32 s0, s2, s1
.Ltmp42:
	.loc	1 66 26                         ; persistent_matmul.py:66:26
	s_lshl_b32 s17, s3, 6
.Ltmp43:
	.loc	1 14 44                         ; persistent_matmul.py:14:44 @[ persistent_matmul.py:65:90 ]
	s_xor_b32 s0, s0, s4
.Ltmp44:
	.loc	1 66 41                         ; persistent_matmul.py:66:41
	v_or_b32_e32 v33, s17, v65
.Ltmp45:
	.loc	1 14 44                         ; persistent_matmul.py:14:44 @[ persistent_matmul.py:65:90 ]
	s_sub_i32 s0, s0, s4
	s_delay_alu instid0(SALU_CYCLE_1) | instskip(NEXT) | instid1(VALU_DEP_1)
.Ltmp46:
	.loc	1 67 26                         ; persistent_matmul.py:67:26
	s_lshl_b32 s48, s0, 6
	.loc	1 68 37                         ; persistent_matmul.py:68:37
	v_mul_lo_u32 v34, v33, s18
	.loc	1 67 41                         ; persistent_matmul.py:67:41
	v_or_b32_e32 v35, s48, v66
	.loc	1 69 37                         ; persistent_matmul.py:69:37
	v_cmp_gt_i32_e64 s10, s22, v33
	s_delay_alu instid0(VALU_DEP_2) | instskip(SKIP_3) | instid1(VALU_DEP_1)
	.loc	1 68 68                         ; persistent_matmul.py:68:68
	v_mul_lo_u32 v32, v35, s19
	.loc	1 69 62                         ; persistent_matmul.py:69:62
	v_cmp_gt_i32_e32 vcc_lo, s23, v35
	.loc	1 68 25                         ; persistent_matmul.py:68:25
	v_ashrrev_i32_e32 v36, 31, v34
	v_add_co_u32 v55, s0, s20, v34
	v_add_co_ci_u32_e64 v56, null, s21, v36, s0
	.loc	1 68 56 is_stmt 0               ; persistent_matmul.py:68:56
	v_ashrrev_i32_e32 v33, 31, v32
	.loc	1 69 43 is_stmt 1               ; persistent_matmul.py:69:43
	s_and_b32 s0, s10, vcc_lo
	s_delay_alu instid0(SALU_CYCLE_1)
	.loc	1 74 25                         ; persistent_matmul.py:74:25
	s_and_saveexec_b32 s1, s0
	s_cbranch_execz .LBB0_138
; %bb.137:                              ;   in Loop: Header=BB0_69 Depth=1
	.loc	1 71 31                         ; persistent_matmul.py:71:31
	v_and_b32_e32 v34, 0x7fffffff, v24
	v_lshrrev_b32_e32 v36, 24, v24
	s_delay_alu instid0(VALU_DEP_2) | instskip(SKIP_1) | instid1(VALU_DEP_2)
	v_bfe_u32 v35, v34, 20, 1
	v_cmp_gt_u32_e64 s0, 0x43e80000, v34
	v_add3_u32 v35, v34, v35, 0x7ffff
	s_delay_alu instid0(VALU_DEP_1) | instskip(NEXT) | instid1(VALU_DEP_1)
	v_and_b32_e32 v35, 0xfff00000, v35
	v_max_u32_e32 v35, 0x3c800000, v35
	s_delay_alu instid0(VALU_DEP_1) | instskip(NEXT) | instid1(VALU_DEP_1)
	v_add_nc_u32_e32 v35, 0x4000000, v35
	v_lshrrev_b32_e32 v35, 20, v35
	s_delay_alu instid0(VALU_DEP_1) | instskip(SKIP_1) | instid1(VALU_DEP_1)
	v_cndmask_b32_e64 v35, 0x7e, v35, s0
	v_cmp_lt_u32_e64 s0, 0x3c6fffff, v34
	v_cndmask_b32_e64 v35, 7, v35, s0
	v_cmp_lt_u32_e64 s0, 0x3c500000, v34
	s_delay_alu instid0(VALU_DEP_1) | instskip(SKIP_1) | instid1(VALU_DEP_1)
	v_cndmask_b32_e64 v35, 6, v35, s0
	v_cmp_lt_u32_e64 s0, 0x3c2fffff, v34
	v_cndmask_b32_e64 v35, 5, v35, s0
	v_cmp_lt_u32_e64 s0, 0x3c100000, v34
	;; [unrolled: 5-line block ×4, first 2 shown]
	s_delay_alu instid0(VALU_DEP_1) | instskip(SKIP_2) | instid1(VALU_DEP_2)
	v_cndmask_b32_e64 v34, 0, v35, s0
	v_cmp_o_f32_e64 s0, v24, v24
	v_and_b32_e32 v35, 0x80, v36
	v_cndmask_b32_e64 v34, 0x7f, v34, s0
	s_delay_alu instid0(VALU_DEP_1) | instskip(SKIP_1) | instid1(VALU_DEP_1)
	v_or_b32_e32 v36, v34, v35
	.loc	1 68 56                         ; persistent_matmul.py:68:56
	v_add_co_u32 v34, s0, v55, v32
	v_add_co_ci_u32_e64 v35, null, v56, v33, s0
	.loc	1 74 25                         ; persistent_matmul.py:74:25
	global_store_b8 v[34:35], v36, off
.LBB0_138:                              ;   in Loop: Header=BB0_69 Depth=1
	.loc	1 0 25 is_stmt 0                ; persistent_matmul.py:0:25
	s_or_b32 exec_lo, exec_lo, s1
	.loc	1 67 41 is_stmt 1               ; persistent_matmul.py:67:41
	v_or_b32_e32 v35, s48, v68
	s_delay_alu instid0(VALU_DEP_1)
	.loc	1 68 68                         ; persistent_matmul.py:68:68
	v_mul_lo_u32 v34, v35, s19
	.loc	1 69 62                         ; persistent_matmul.py:69:62
	v_cmp_gt_i32_e64 s0, s23, v35
	.loc	1 69 43 is_stmt 0               ; persistent_matmul.py:69:43
	s_and_b32 s1, s10, s0
	.loc	1 68 56 is_stmt 1               ; persistent_matmul.py:68:56
	v_ashrrev_i32_e32 v35, 31, v34
	.loc	1 74 25                         ; persistent_matmul.py:74:25
	s_and_saveexec_b32 s2, s1
	s_cbranch_execz .LBB0_140
; %bb.139:                              ;   in Loop: Header=BB0_69 Depth=1
	.loc	1 71 31                         ; persistent_matmul.py:71:31
	v_and_b32_e32 v36, 0x7fffffff, v25
	v_lshrrev_b32_e32 v38, 24, v25
	s_delay_alu instid0(VALU_DEP_2) | instskip(SKIP_1) | instid1(VALU_DEP_3)
	v_bfe_u32 v37, v36, 20, 1
	v_cmp_gt_u32_e64 s1, 0x43e80000, v36
	v_and_b32_e32 v38, 0x80, v38
	s_delay_alu instid0(VALU_DEP_3) | instskip(NEXT) | instid1(VALU_DEP_1)
	v_add3_u32 v37, v36, v37, 0x7ffff
	v_and_b32_e32 v37, 0xfff00000, v37
	s_delay_alu instid0(VALU_DEP_1) | instskip(NEXT) | instid1(VALU_DEP_1)
	v_max_u32_e32 v37, 0x3c800000, v37
	v_add_nc_u32_e32 v37, 0x4000000, v37
	s_delay_alu instid0(VALU_DEP_1) | instskip(NEXT) | instid1(VALU_DEP_1)
	v_lshrrev_b32_e32 v37, 20, v37
	v_cndmask_b32_e64 v37, 0x7e, v37, s1
	v_cmp_lt_u32_e64 s1, 0x3c6fffff, v36
	s_delay_alu instid0(VALU_DEP_1) | instskip(SKIP_1) | instid1(VALU_DEP_1)
	v_cndmask_b32_e64 v37, 7, v37, s1
	v_cmp_lt_u32_e64 s1, 0x3c500000, v36
	v_cndmask_b32_e64 v37, 6, v37, s1
	v_cmp_lt_u32_e64 s1, 0x3c2fffff, v36
	s_delay_alu instid0(VALU_DEP_1) | instskip(SKIP_1) | instid1(VALU_DEP_1)
	v_cndmask_b32_e64 v37, 5, v37, s1
	v_cmp_lt_u32_e64 s1, 0x3c100000, v36
	;; [unrolled: 5-line block ×4, first 2 shown]
	v_cndmask_b32_e64 v36, 0, v37, s1
	v_cmp_o_f32_e64 s1, v25, v25
	s_delay_alu instid0(VALU_DEP_1) | instskip(SKIP_1) | instid1(VALU_DEP_1)
	v_cndmask_b32_e64 v39, 0x7f, v36, s1
	.loc	1 68 56                         ; persistent_matmul.py:68:56
	v_add_co_u32 v36, s1, v55, v34
	v_add_co_ci_u32_e64 v37, null, v56, v35, s1
	s_delay_alu instid0(VALU_DEP_3)
	.loc	1 71 31                         ; persistent_matmul.py:71:31
	v_or_b32_e32 v38, v39, v38
	.loc	1 74 25                         ; persistent_matmul.py:74:25
	global_store_b8 v[36:37], v38, off
.LBB0_140:                              ;   in Loop: Header=BB0_69 Depth=1
	.loc	1 0 25 is_stmt 0                ; persistent_matmul.py:0:25
	s_or_b32 exec_lo, exec_lo, s2
	.loc	1 67 41 is_stmt 1               ; persistent_matmul.py:67:41
	v_or_b32_e32 v37, s48, v69
	s_delay_alu instid0(VALU_DEP_1)
	.loc	1 68 68                         ; persistent_matmul.py:68:68
	v_mul_lo_u32 v36, v37, s19
	.loc	1 69 62                         ; persistent_matmul.py:69:62
	v_cmp_gt_i32_e64 s1, s23, v37
	.loc	1 69 43 is_stmt 0               ; persistent_matmul.py:69:43
	s_and_b32 s2, s10, s1
	.loc	1 68 56 is_stmt 1               ; persistent_matmul.py:68:56
	v_ashrrev_i32_e32 v37, 31, v36
	.loc	1 74 25                         ; persistent_matmul.py:74:25
	s_and_saveexec_b32 s3, s2
	s_cbranch_execz .LBB0_142
; %bb.141:                              ;   in Loop: Header=BB0_69 Depth=1
	.loc	1 71 31                         ; persistent_matmul.py:71:31
	v_and_b32_e32 v38, 0x7fffffff, v26
	v_lshrrev_b32_e32 v40, 24, v26
	s_delay_alu instid0(VALU_DEP_2) | instskip(SKIP_1) | instid1(VALU_DEP_3)
	v_bfe_u32 v39, v38, 20, 1
	v_cmp_gt_u32_e64 s2, 0x43e80000, v38
	v_and_b32_e32 v40, 0x80, v40
	s_delay_alu instid0(VALU_DEP_3) | instskip(NEXT) | instid1(VALU_DEP_1)
	v_add3_u32 v39, v38, v39, 0x7ffff
	v_and_b32_e32 v39, 0xfff00000, v39
	s_delay_alu instid0(VALU_DEP_1) | instskip(NEXT) | instid1(VALU_DEP_1)
	v_max_u32_e32 v39, 0x3c800000, v39
	v_add_nc_u32_e32 v39, 0x4000000, v39
	s_delay_alu instid0(VALU_DEP_1) | instskip(NEXT) | instid1(VALU_DEP_1)
	v_lshrrev_b32_e32 v39, 20, v39
	v_cndmask_b32_e64 v39, 0x7e, v39, s2
	v_cmp_lt_u32_e64 s2, 0x3c6fffff, v38
	s_delay_alu instid0(VALU_DEP_1) | instskip(SKIP_1) | instid1(VALU_DEP_1)
	v_cndmask_b32_e64 v39, 7, v39, s2
	v_cmp_lt_u32_e64 s2, 0x3c500000, v38
	v_cndmask_b32_e64 v39, 6, v39, s2
	v_cmp_lt_u32_e64 s2, 0x3c2fffff, v38
	s_delay_alu instid0(VALU_DEP_1) | instskip(SKIP_1) | instid1(VALU_DEP_1)
	v_cndmask_b32_e64 v39, 5, v39, s2
	v_cmp_lt_u32_e64 s2, 0x3c100000, v38
	;; [unrolled: 5-line block ×4, first 2 shown]
	v_cndmask_b32_e64 v38, 0, v39, s2
	v_cmp_o_f32_e64 s2, v26, v26
	s_delay_alu instid0(VALU_DEP_1) | instskip(SKIP_1) | instid1(VALU_DEP_1)
	v_cndmask_b32_e64 v41, 0x7f, v38, s2
	.loc	1 68 56                         ; persistent_matmul.py:68:56
	v_add_co_u32 v38, s2, v55, v36
	v_add_co_ci_u32_e64 v39, null, v56, v37, s2
	s_delay_alu instid0(VALU_DEP_3)
	.loc	1 71 31                         ; persistent_matmul.py:71:31
	v_or_b32_e32 v40, v41, v40
	.loc	1 74 25                         ; persistent_matmul.py:74:25
	global_store_b8 v[38:39], v40, off
.LBB0_142:                              ;   in Loop: Header=BB0_69 Depth=1
	.loc	1 0 25 is_stmt 0                ; persistent_matmul.py:0:25
	s_or_b32 exec_lo, exec_lo, s3
	.loc	1 67 41 is_stmt 1               ; persistent_matmul.py:67:41
	v_or_b32_e32 v39, s48, v70
	s_delay_alu instid0(VALU_DEP_1)
	.loc	1 68 68                         ; persistent_matmul.py:68:68
	v_mul_lo_u32 v38, v39, s19
	.loc	1 69 62                         ; persistent_matmul.py:69:62
	v_cmp_gt_i32_e64 s2, s23, v39
	.loc	1 69 43 is_stmt 0               ; persistent_matmul.py:69:43
	s_and_b32 s3, s10, s2
	.loc	1 68 56 is_stmt 1               ; persistent_matmul.py:68:56
	v_ashrrev_i32_e32 v39, 31, v38
	.loc	1 74 25                         ; persistent_matmul.py:74:25
	s_and_saveexec_b32 s4, s3
	s_cbranch_execz .LBB0_144
; %bb.143:                              ;   in Loop: Header=BB0_69 Depth=1
	.loc	1 71 31                         ; persistent_matmul.py:71:31
	v_and_b32_e32 v40, 0x7fffffff, v27
	v_lshrrev_b32_e32 v42, 24, v27
	s_delay_alu instid0(VALU_DEP_2) | instskip(SKIP_1) | instid1(VALU_DEP_3)
	v_bfe_u32 v41, v40, 20, 1
	v_cmp_gt_u32_e64 s3, 0x43e80000, v40
	v_and_b32_e32 v42, 0x80, v42
	s_delay_alu instid0(VALU_DEP_3) | instskip(NEXT) | instid1(VALU_DEP_1)
	v_add3_u32 v41, v40, v41, 0x7ffff
	v_and_b32_e32 v41, 0xfff00000, v41
	s_delay_alu instid0(VALU_DEP_1) | instskip(NEXT) | instid1(VALU_DEP_1)
	v_max_u32_e32 v41, 0x3c800000, v41
	v_add_nc_u32_e32 v41, 0x4000000, v41
	s_delay_alu instid0(VALU_DEP_1) | instskip(NEXT) | instid1(VALU_DEP_1)
	v_lshrrev_b32_e32 v41, 20, v41
	v_cndmask_b32_e64 v41, 0x7e, v41, s3
	v_cmp_lt_u32_e64 s3, 0x3c6fffff, v40
	s_delay_alu instid0(VALU_DEP_1) | instskip(SKIP_1) | instid1(VALU_DEP_1)
	v_cndmask_b32_e64 v41, 7, v41, s3
	v_cmp_lt_u32_e64 s3, 0x3c500000, v40
	v_cndmask_b32_e64 v41, 6, v41, s3
	v_cmp_lt_u32_e64 s3, 0x3c2fffff, v40
	s_delay_alu instid0(VALU_DEP_1) | instskip(SKIP_1) | instid1(VALU_DEP_1)
	v_cndmask_b32_e64 v41, 5, v41, s3
	v_cmp_lt_u32_e64 s3, 0x3c100000, v40
	;; [unrolled: 5-line block ×4, first 2 shown]
	v_cndmask_b32_e64 v40, 0, v41, s3
	v_cmp_o_f32_e64 s3, v27, v27
	s_delay_alu instid0(VALU_DEP_1) | instskip(SKIP_1) | instid1(VALU_DEP_1)
	v_cndmask_b32_e64 v43, 0x7f, v40, s3
	.loc	1 68 56                         ; persistent_matmul.py:68:56
	v_add_co_u32 v40, s3, v55, v38
	v_add_co_ci_u32_e64 v41, null, v56, v39, s3
	s_delay_alu instid0(VALU_DEP_3)
	.loc	1 71 31                         ; persistent_matmul.py:71:31
	v_or_b32_e32 v42, v43, v42
	.loc	1 74 25                         ; persistent_matmul.py:74:25
	global_store_b8 v[40:41], v42, off
.LBB0_144:                              ;   in Loop: Header=BB0_69 Depth=1
	.loc	1 0 25 is_stmt 0                ; persistent_matmul.py:0:25
	s_or_b32 exec_lo, exec_lo, s4
	.loc	1 67 41 is_stmt 1               ; persistent_matmul.py:67:41
	v_or_b32_e32 v41, s48, v71
	s_delay_alu instid0(VALU_DEP_1)
	.loc	1 68 68                         ; persistent_matmul.py:68:68
	v_mul_lo_u32 v40, v41, s19
	.loc	1 69 62                         ; persistent_matmul.py:69:62
	v_cmp_gt_i32_e64 s3, s23, v41
	.loc	1 69 43 is_stmt 0               ; persistent_matmul.py:69:43
	s_and_b32 s4, s10, s3
	.loc	1 68 56 is_stmt 1               ; persistent_matmul.py:68:56
	v_ashrrev_i32_e32 v41, 31, v40
	.loc	1 74 25                         ; persistent_matmul.py:74:25
	s_and_saveexec_b32 s5, s4
	s_cbranch_execz .LBB0_146
; %bb.145:                              ;   in Loop: Header=BB0_69 Depth=1
	.loc	1 71 31                         ; persistent_matmul.py:71:31
	v_and_b32_e32 v42, 0x7fffffff, v28
	v_lshrrev_b32_e32 v44, 24, v28
	s_delay_alu instid0(VALU_DEP_2) | instskip(SKIP_1) | instid1(VALU_DEP_3)
	v_bfe_u32 v43, v42, 20, 1
	v_cmp_gt_u32_e64 s4, 0x43e80000, v42
	v_and_b32_e32 v44, 0x80, v44
	s_delay_alu instid0(VALU_DEP_3) | instskip(NEXT) | instid1(VALU_DEP_1)
	v_add3_u32 v43, v42, v43, 0x7ffff
	v_and_b32_e32 v43, 0xfff00000, v43
	s_delay_alu instid0(VALU_DEP_1) | instskip(NEXT) | instid1(VALU_DEP_1)
	v_max_u32_e32 v43, 0x3c800000, v43
	v_add_nc_u32_e32 v43, 0x4000000, v43
	s_delay_alu instid0(VALU_DEP_1) | instskip(NEXT) | instid1(VALU_DEP_1)
	v_lshrrev_b32_e32 v43, 20, v43
	v_cndmask_b32_e64 v43, 0x7e, v43, s4
	v_cmp_lt_u32_e64 s4, 0x3c6fffff, v42
	s_delay_alu instid0(VALU_DEP_1) | instskip(SKIP_1) | instid1(VALU_DEP_1)
	v_cndmask_b32_e64 v43, 7, v43, s4
	v_cmp_lt_u32_e64 s4, 0x3c500000, v42
	v_cndmask_b32_e64 v43, 6, v43, s4
	v_cmp_lt_u32_e64 s4, 0x3c2fffff, v42
	s_delay_alu instid0(VALU_DEP_1) | instskip(SKIP_1) | instid1(VALU_DEP_1)
	v_cndmask_b32_e64 v43, 5, v43, s4
	v_cmp_lt_u32_e64 s4, 0x3c100000, v42
	;; [unrolled: 5-line block ×4, first 2 shown]
	v_cndmask_b32_e64 v42, 0, v43, s4
	v_cmp_o_f32_e64 s4, v28, v28
	s_delay_alu instid0(VALU_DEP_1) | instskip(SKIP_1) | instid1(VALU_DEP_1)
	v_cndmask_b32_e64 v45, 0x7f, v42, s4
	.loc	1 68 56                         ; persistent_matmul.py:68:56
	v_add_co_u32 v42, s4, v55, v40
	v_add_co_ci_u32_e64 v43, null, v56, v41, s4
	s_delay_alu instid0(VALU_DEP_3)
	.loc	1 71 31                         ; persistent_matmul.py:71:31
	v_or_b32_e32 v44, v45, v44
	.loc	1 74 25                         ; persistent_matmul.py:74:25
	global_store_b8 v[42:43], v44, off
.LBB0_146:                              ;   in Loop: Header=BB0_69 Depth=1
	.loc	1 0 25 is_stmt 0                ; persistent_matmul.py:0:25
	s_or_b32 exec_lo, exec_lo, s5
	.loc	1 67 41 is_stmt 1               ; persistent_matmul.py:67:41
	v_or_b32_e32 v43, s48, v72
	s_delay_alu instid0(VALU_DEP_1)
	.loc	1 68 68                         ; persistent_matmul.py:68:68
	v_mul_lo_u32 v42, v43, s19
	.loc	1 69 62                         ; persistent_matmul.py:69:62
	v_cmp_gt_i32_e64 s4, s23, v43
	.loc	1 69 43 is_stmt 0               ; persistent_matmul.py:69:43
	s_and_b32 s5, s10, s4
	.loc	1 68 56 is_stmt 1               ; persistent_matmul.py:68:56
	v_ashrrev_i32_e32 v43, 31, v42
	.loc	1 74 25                         ; persistent_matmul.py:74:25
	s_and_saveexec_b32 s6, s5
	s_cbranch_execz .LBB0_148
; %bb.147:                              ;   in Loop: Header=BB0_69 Depth=1
	.loc	1 71 31                         ; persistent_matmul.py:71:31
	v_and_b32_e32 v44, 0x7fffffff, v29
	v_lshrrev_b32_e32 v46, 24, v29
	s_delay_alu instid0(VALU_DEP_2) | instskip(SKIP_1) | instid1(VALU_DEP_3)
	v_bfe_u32 v45, v44, 20, 1
	v_cmp_gt_u32_e64 s5, 0x43e80000, v44
	v_and_b32_e32 v46, 0x80, v46
	s_delay_alu instid0(VALU_DEP_3) | instskip(NEXT) | instid1(VALU_DEP_1)
	v_add3_u32 v45, v44, v45, 0x7ffff
	v_and_b32_e32 v45, 0xfff00000, v45
	s_delay_alu instid0(VALU_DEP_1) | instskip(NEXT) | instid1(VALU_DEP_1)
	v_max_u32_e32 v45, 0x3c800000, v45
	v_add_nc_u32_e32 v45, 0x4000000, v45
	s_delay_alu instid0(VALU_DEP_1) | instskip(NEXT) | instid1(VALU_DEP_1)
	v_lshrrev_b32_e32 v45, 20, v45
	v_cndmask_b32_e64 v45, 0x7e, v45, s5
	v_cmp_lt_u32_e64 s5, 0x3c6fffff, v44
	s_delay_alu instid0(VALU_DEP_1) | instskip(SKIP_1) | instid1(VALU_DEP_1)
	v_cndmask_b32_e64 v45, 7, v45, s5
	v_cmp_lt_u32_e64 s5, 0x3c500000, v44
	v_cndmask_b32_e64 v45, 6, v45, s5
	v_cmp_lt_u32_e64 s5, 0x3c2fffff, v44
	s_delay_alu instid0(VALU_DEP_1) | instskip(SKIP_1) | instid1(VALU_DEP_1)
	v_cndmask_b32_e64 v45, 5, v45, s5
	v_cmp_lt_u32_e64 s5, 0x3c100000, v44
	;; [unrolled: 5-line block ×4, first 2 shown]
	v_cndmask_b32_e64 v44, 0, v45, s5
	v_cmp_o_f32_e64 s5, v29, v29
	s_delay_alu instid0(VALU_DEP_1) | instskip(SKIP_1) | instid1(VALU_DEP_1)
	v_cndmask_b32_e64 v47, 0x7f, v44, s5
	.loc	1 68 56                         ; persistent_matmul.py:68:56
	v_add_co_u32 v44, s5, v55, v42
	v_add_co_ci_u32_e64 v45, null, v56, v43, s5
	s_delay_alu instid0(VALU_DEP_3)
	.loc	1 71 31                         ; persistent_matmul.py:71:31
	v_or_b32_e32 v46, v47, v46
	.loc	1 74 25                         ; persistent_matmul.py:74:25
	global_store_b8 v[44:45], v46, off
.LBB0_148:                              ;   in Loop: Header=BB0_69 Depth=1
	.loc	1 0 25 is_stmt 0                ; persistent_matmul.py:0:25
	s_or_b32 exec_lo, exec_lo, s6
	.loc	1 67 41 is_stmt 1               ; persistent_matmul.py:67:41
	v_or_b32_e32 v45, s48, v73
	s_delay_alu instid0(VALU_DEP_1)
	.loc	1 68 68                         ; persistent_matmul.py:68:68
	v_mul_lo_u32 v44, v45, s19
	.loc	1 69 62                         ; persistent_matmul.py:69:62
	v_cmp_gt_i32_e64 s5, s23, v45
	.loc	1 69 43 is_stmt 0               ; persistent_matmul.py:69:43
	s_and_b32 s6, s10, s5
	.loc	1 68 56 is_stmt 1               ; persistent_matmul.py:68:56
	v_ashrrev_i32_e32 v45, 31, v44
	.loc	1 74 25                         ; persistent_matmul.py:74:25
	s_and_saveexec_b32 s7, s6
	s_cbranch_execz .LBB0_150
; %bb.149:                              ;   in Loop: Header=BB0_69 Depth=1
	.loc	1 71 31                         ; persistent_matmul.py:71:31
	v_and_b32_e32 v46, 0x7fffffff, v30
	v_lshrrev_b32_e32 v48, 24, v30
	s_delay_alu instid0(VALU_DEP_2) | instskip(SKIP_1) | instid1(VALU_DEP_3)
	v_bfe_u32 v47, v46, 20, 1
	v_cmp_gt_u32_e64 s6, 0x43e80000, v46
	v_and_b32_e32 v48, 0x80, v48
	s_delay_alu instid0(VALU_DEP_3) | instskip(NEXT) | instid1(VALU_DEP_1)
	v_add3_u32 v47, v46, v47, 0x7ffff
	v_and_b32_e32 v47, 0xfff00000, v47
	s_delay_alu instid0(VALU_DEP_1) | instskip(NEXT) | instid1(VALU_DEP_1)
	v_max_u32_e32 v47, 0x3c800000, v47
	v_add_nc_u32_e32 v47, 0x4000000, v47
	s_delay_alu instid0(VALU_DEP_1) | instskip(NEXT) | instid1(VALU_DEP_1)
	v_lshrrev_b32_e32 v47, 20, v47
	v_cndmask_b32_e64 v47, 0x7e, v47, s6
	v_cmp_lt_u32_e64 s6, 0x3c6fffff, v46
	s_delay_alu instid0(VALU_DEP_1) | instskip(SKIP_1) | instid1(VALU_DEP_1)
	v_cndmask_b32_e64 v47, 7, v47, s6
	v_cmp_lt_u32_e64 s6, 0x3c500000, v46
	v_cndmask_b32_e64 v47, 6, v47, s6
	v_cmp_lt_u32_e64 s6, 0x3c2fffff, v46
	s_delay_alu instid0(VALU_DEP_1) | instskip(SKIP_1) | instid1(VALU_DEP_1)
	v_cndmask_b32_e64 v47, 5, v47, s6
	v_cmp_lt_u32_e64 s6, 0x3c100000, v46
	;; [unrolled: 5-line block ×4, first 2 shown]
	v_cndmask_b32_e64 v46, 0, v47, s6
	v_cmp_o_f32_e64 s6, v30, v30
	s_delay_alu instid0(VALU_DEP_1) | instskip(SKIP_1) | instid1(VALU_DEP_1)
	v_cndmask_b32_e64 v49, 0x7f, v46, s6
	.loc	1 68 56                         ; persistent_matmul.py:68:56
	v_add_co_u32 v46, s6, v55, v44
	v_add_co_ci_u32_e64 v47, null, v56, v45, s6
	s_delay_alu instid0(VALU_DEP_3)
	.loc	1 71 31                         ; persistent_matmul.py:71:31
	v_or_b32_e32 v48, v49, v48
	.loc	1 74 25                         ; persistent_matmul.py:74:25
	global_store_b8 v[46:47], v48, off
.LBB0_150:                              ;   in Loop: Header=BB0_69 Depth=1
	.loc	1 0 25 is_stmt 0                ; persistent_matmul.py:0:25
	s_or_b32 exec_lo, exec_lo, s7
	.loc	1 67 41 is_stmt 1               ; persistent_matmul.py:67:41
	v_or_b32_e32 v47, s48, v74
	s_delay_alu instid0(VALU_DEP_1)
	.loc	1 68 68                         ; persistent_matmul.py:68:68
	v_mul_lo_u32 v46, v47, s19
	.loc	1 69 62                         ; persistent_matmul.py:69:62
	v_cmp_gt_i32_e64 s6, s23, v47
	.loc	1 69 43 is_stmt 0               ; persistent_matmul.py:69:43
	s_and_b32 s7, s10, s6
	.loc	1 68 56 is_stmt 1               ; persistent_matmul.py:68:56
	v_ashrrev_i32_e32 v47, 31, v46
	.loc	1 74 25                         ; persistent_matmul.py:74:25
	s_and_saveexec_b32 s8, s7
	s_cbranch_execz .LBB0_152
; %bb.151:                              ;   in Loop: Header=BB0_69 Depth=1
	.loc	1 71 31                         ; persistent_matmul.py:71:31
	v_and_b32_e32 v48, 0x7fffffff, v31
	v_lshrrev_b32_e32 v50, 24, v31
	s_delay_alu instid0(VALU_DEP_2) | instskip(SKIP_1) | instid1(VALU_DEP_3)
	v_bfe_u32 v49, v48, 20, 1
	v_cmp_gt_u32_e64 s7, 0x43e80000, v48
	v_and_b32_e32 v50, 0x80, v50
	s_delay_alu instid0(VALU_DEP_3) | instskip(NEXT) | instid1(VALU_DEP_1)
	v_add3_u32 v49, v48, v49, 0x7ffff
	v_and_b32_e32 v49, 0xfff00000, v49
	s_delay_alu instid0(VALU_DEP_1) | instskip(NEXT) | instid1(VALU_DEP_1)
	v_max_u32_e32 v49, 0x3c800000, v49
	v_add_nc_u32_e32 v49, 0x4000000, v49
	s_delay_alu instid0(VALU_DEP_1) | instskip(NEXT) | instid1(VALU_DEP_1)
	v_lshrrev_b32_e32 v49, 20, v49
	v_cndmask_b32_e64 v49, 0x7e, v49, s7
	v_cmp_lt_u32_e64 s7, 0x3c6fffff, v48
	s_delay_alu instid0(VALU_DEP_1) | instskip(SKIP_1) | instid1(VALU_DEP_1)
	v_cndmask_b32_e64 v49, 7, v49, s7
	v_cmp_lt_u32_e64 s7, 0x3c500000, v48
	v_cndmask_b32_e64 v49, 6, v49, s7
	v_cmp_lt_u32_e64 s7, 0x3c2fffff, v48
	s_delay_alu instid0(VALU_DEP_1) | instskip(SKIP_1) | instid1(VALU_DEP_1)
	v_cndmask_b32_e64 v49, 5, v49, s7
	v_cmp_lt_u32_e64 s7, 0x3c100000, v48
	;; [unrolled: 5-line block ×4, first 2 shown]
	v_cndmask_b32_e64 v48, 0, v49, s7
	v_cmp_o_f32_e64 s7, v31, v31
	s_delay_alu instid0(VALU_DEP_1) | instskip(SKIP_1) | instid1(VALU_DEP_1)
	v_cndmask_b32_e64 v51, 0x7f, v48, s7
	.loc	1 68 56                         ; persistent_matmul.py:68:56
	v_add_co_u32 v48, s7, v55, v46
	v_add_co_ci_u32_e64 v49, null, v56, v47, s7
	s_delay_alu instid0(VALU_DEP_3)
	.loc	1 71 31                         ; persistent_matmul.py:71:31
	v_or_b32_e32 v50, v51, v50
	.loc	1 74 25                         ; persistent_matmul.py:74:25
	global_store_b8 v[48:49], v50, off
.LBB0_152:                              ;   in Loop: Header=BB0_69 Depth=1
	.loc	1 0 25 is_stmt 0                ; persistent_matmul.py:0:25
	s_or_b32 exec_lo, exec_lo, s8
	.loc	1 67 41 is_stmt 1               ; persistent_matmul.py:67:41
	v_or_b32_e32 v49, s48, v75
	s_delay_alu instid0(VALU_DEP_1)
	.loc	1 68 68                         ; persistent_matmul.py:68:68
	v_mul_lo_u32 v48, v49, s19
	.loc	1 69 62                         ; persistent_matmul.py:69:62
	v_cmp_gt_i32_e64 s7, s23, v49
	.loc	1 69 43 is_stmt 0               ; persistent_matmul.py:69:43
	s_and_b32 s8, s10, s7
	.loc	1 68 56 is_stmt 1               ; persistent_matmul.py:68:56
	v_ashrrev_i32_e32 v49, 31, v48
	.loc	1 74 25                         ; persistent_matmul.py:74:25
	s_and_saveexec_b32 s9, s8
	s_cbranch_execz .LBB0_154
; %bb.153:                              ;   in Loop: Header=BB0_69 Depth=1
	.loc	1 71 31                         ; persistent_matmul.py:71:31
	v_and_b32_e32 v50, 0x7fffffff, v16
	v_lshrrev_b32_e32 v52, 24, v16
	s_delay_alu instid0(VALU_DEP_2) | instskip(SKIP_1) | instid1(VALU_DEP_3)
	v_bfe_u32 v51, v50, 20, 1
	v_cmp_gt_u32_e64 s8, 0x43e80000, v50
	v_and_b32_e32 v52, 0x80, v52
	s_delay_alu instid0(VALU_DEP_3) | instskip(NEXT) | instid1(VALU_DEP_1)
	v_add3_u32 v51, v50, v51, 0x7ffff
	v_and_b32_e32 v51, 0xfff00000, v51
	s_delay_alu instid0(VALU_DEP_1) | instskip(NEXT) | instid1(VALU_DEP_1)
	v_max_u32_e32 v51, 0x3c800000, v51
	v_add_nc_u32_e32 v51, 0x4000000, v51
	s_delay_alu instid0(VALU_DEP_1) | instskip(NEXT) | instid1(VALU_DEP_1)
	v_lshrrev_b32_e32 v51, 20, v51
	v_cndmask_b32_e64 v51, 0x7e, v51, s8
	v_cmp_lt_u32_e64 s8, 0x3c6fffff, v50
	s_delay_alu instid0(VALU_DEP_1) | instskip(SKIP_1) | instid1(VALU_DEP_1)
	v_cndmask_b32_e64 v51, 7, v51, s8
	v_cmp_lt_u32_e64 s8, 0x3c500000, v50
	v_cndmask_b32_e64 v51, 6, v51, s8
	v_cmp_lt_u32_e64 s8, 0x3c2fffff, v50
	s_delay_alu instid0(VALU_DEP_1) | instskip(SKIP_1) | instid1(VALU_DEP_1)
	v_cndmask_b32_e64 v51, 5, v51, s8
	v_cmp_lt_u32_e64 s8, 0x3c100000, v50
	;; [unrolled: 5-line block ×4, first 2 shown]
	v_cndmask_b32_e64 v50, 0, v51, s8
	v_cmp_o_f32_e64 s8, v16, v16
	s_delay_alu instid0(VALU_DEP_1) | instskip(SKIP_1) | instid1(VALU_DEP_1)
	v_cndmask_b32_e64 v53, 0x7f, v50, s8
	.loc	1 68 56                         ; persistent_matmul.py:68:56
	v_add_co_u32 v50, s8, v55, v48
	v_add_co_ci_u32_e64 v51, null, v56, v49, s8
	s_delay_alu instid0(VALU_DEP_3)
	.loc	1 71 31                         ; persistent_matmul.py:71:31
	v_or_b32_e32 v52, v53, v52
	.loc	1 74 25                         ; persistent_matmul.py:74:25
	global_store_b8 v[50:51], v52, off
.LBB0_154:                              ;   in Loop: Header=BB0_69 Depth=1
	.loc	1 0 25 is_stmt 0                ; persistent_matmul.py:0:25
	s_or_b32 exec_lo, exec_lo, s9
	.loc	1 67 41 is_stmt 1               ; persistent_matmul.py:67:41
	v_or_b32_e32 v51, s48, v76
	s_delay_alu instid0(VALU_DEP_1)
	.loc	1 68 68                         ; persistent_matmul.py:68:68
	v_mul_lo_u32 v50, v51, s19
	.loc	1 69 62                         ; persistent_matmul.py:69:62
	v_cmp_gt_i32_e64 s8, s23, v51
	.loc	1 69 43 is_stmt 0               ; persistent_matmul.py:69:43
	s_and_b32 s9, s10, s8
	.loc	1 68 56 is_stmt 1               ; persistent_matmul.py:68:56
	v_ashrrev_i32_e32 v51, 31, v50
	.loc	1 74 25                         ; persistent_matmul.py:74:25
	s_and_saveexec_b32 s11, s9
	s_cbranch_execz .LBB0_156
; %bb.155:                              ;   in Loop: Header=BB0_69 Depth=1
	.loc	1 71 31                         ; persistent_matmul.py:71:31
	v_and_b32_e32 v52, 0x7fffffff, v17
	v_lshrrev_b32_e32 v54, 24, v17
	s_delay_alu instid0(VALU_DEP_2) | instskip(SKIP_1) | instid1(VALU_DEP_3)
	v_bfe_u32 v53, v52, 20, 1
	v_cmp_gt_u32_e64 s9, 0x43e80000, v52
	v_and_b32_e32 v54, 0x80, v54
	s_delay_alu instid0(VALU_DEP_3) | instskip(NEXT) | instid1(VALU_DEP_1)
	v_add3_u32 v53, v52, v53, 0x7ffff
	v_and_b32_e32 v53, 0xfff00000, v53
	s_delay_alu instid0(VALU_DEP_1) | instskip(NEXT) | instid1(VALU_DEP_1)
	v_max_u32_e32 v53, 0x3c800000, v53
	v_add_nc_u32_e32 v53, 0x4000000, v53
	s_delay_alu instid0(VALU_DEP_1) | instskip(NEXT) | instid1(VALU_DEP_1)
	v_lshrrev_b32_e32 v53, 20, v53
	v_cndmask_b32_e64 v53, 0x7e, v53, s9
	v_cmp_lt_u32_e64 s9, 0x3c6fffff, v52
	s_delay_alu instid0(VALU_DEP_1) | instskip(SKIP_1) | instid1(VALU_DEP_1)
	v_cndmask_b32_e64 v53, 7, v53, s9
	v_cmp_lt_u32_e64 s9, 0x3c500000, v52
	v_cndmask_b32_e64 v53, 6, v53, s9
	v_cmp_lt_u32_e64 s9, 0x3c2fffff, v52
	s_delay_alu instid0(VALU_DEP_1) | instskip(SKIP_1) | instid1(VALU_DEP_1)
	v_cndmask_b32_e64 v53, 5, v53, s9
	v_cmp_lt_u32_e64 s9, 0x3c100000, v52
	;; [unrolled: 5-line block ×4, first 2 shown]
	v_cndmask_b32_e64 v52, 0, v53, s9
	v_cmp_o_f32_e64 s9, v17, v17
	s_delay_alu instid0(VALU_DEP_1) | instskip(SKIP_1) | instid1(VALU_DEP_1)
	v_cndmask_b32_e64 v57, 0x7f, v52, s9
	.loc	1 68 56                         ; persistent_matmul.py:68:56
	v_add_co_u32 v52, s9, v55, v50
	v_add_co_ci_u32_e64 v53, null, v56, v51, s9
	s_delay_alu instid0(VALU_DEP_3)
	.loc	1 71 31                         ; persistent_matmul.py:71:31
	v_or_b32_e32 v54, v57, v54
	.loc	1 74 25                         ; persistent_matmul.py:74:25
	global_store_b8 v[52:53], v54, off
.LBB0_156:                              ;   in Loop: Header=BB0_69 Depth=1
	.loc	1 0 25 is_stmt 0                ; persistent_matmul.py:0:25
	s_or_b32 exec_lo, exec_lo, s11
	.loc	1 67 41 is_stmt 1               ; persistent_matmul.py:67:41
	v_or_b32_e32 v53, s48, v77
	s_delay_alu instid0(VALU_DEP_1)
	.loc	1 68 68                         ; persistent_matmul.py:68:68
	v_mul_lo_u32 v52, v53, s19
	.loc	1 69 62                         ; persistent_matmul.py:69:62
	v_cmp_gt_i32_e64 s9, s23, v53
	.loc	1 69 43 is_stmt 0               ; persistent_matmul.py:69:43
	s_and_b32 s11, s10, s9
	.loc	1 68 56 is_stmt 1               ; persistent_matmul.py:68:56
	v_ashrrev_i32_e32 v53, 31, v52
	.loc	1 74 25                         ; persistent_matmul.py:74:25
	s_and_saveexec_b32 s12, s11
	s_cbranch_execz .LBB0_158
; %bb.157:                              ;   in Loop: Header=BB0_69 Depth=1
	.loc	1 71 31                         ; persistent_matmul.py:71:31
	v_and_b32_e32 v54, 0x7fffffff, v18
	v_lshrrev_b32_e32 v58, 24, v18
	s_delay_alu instid0(VALU_DEP_2) | instskip(SKIP_1) | instid1(VALU_DEP_3)
	v_bfe_u32 v57, v54, 20, 1
	v_cmp_gt_u32_e64 s11, 0x43e80000, v54
	v_and_b32_e32 v59, 0x80, v58
	s_delay_alu instid0(VALU_DEP_3) | instskip(NEXT) | instid1(VALU_DEP_1)
	v_add3_u32 v57, v54, v57, 0x7ffff
	v_and_b32_e32 v57, 0xfff00000, v57
	s_delay_alu instid0(VALU_DEP_1) | instskip(NEXT) | instid1(VALU_DEP_1)
	v_max_u32_e32 v57, 0x3c800000, v57
	v_add_nc_u32_e32 v57, 0x4000000, v57
	s_delay_alu instid0(VALU_DEP_1) | instskip(NEXT) | instid1(VALU_DEP_1)
	v_lshrrev_b32_e32 v57, 20, v57
	v_cndmask_b32_e64 v57, 0x7e, v57, s11
	v_cmp_lt_u32_e64 s11, 0x3c6fffff, v54
	s_delay_alu instid0(VALU_DEP_1) | instskip(SKIP_1) | instid1(VALU_DEP_1)
	v_cndmask_b32_e64 v57, 7, v57, s11
	v_cmp_lt_u32_e64 s11, 0x3c500000, v54
	v_cndmask_b32_e64 v57, 6, v57, s11
	v_cmp_lt_u32_e64 s11, 0x3c2fffff, v54
	s_delay_alu instid0(VALU_DEP_1) | instskip(SKIP_1) | instid1(VALU_DEP_1)
	v_cndmask_b32_e64 v57, 5, v57, s11
	v_cmp_lt_u32_e64 s11, 0x3c100000, v54
	;; [unrolled: 5-line block ×4, first 2 shown]
	v_cndmask_b32_e64 v54, 0, v57, s11
	v_cmp_o_f32_e64 s11, v18, v18
	s_delay_alu instid0(VALU_DEP_1) | instskip(SKIP_1) | instid1(VALU_DEP_1)
	v_cndmask_b32_e64 v54, 0x7f, v54, s11
	.loc	1 68 56                         ; persistent_matmul.py:68:56
	v_add_co_u32 v57, s11, v55, v52
	v_add_co_ci_u32_e64 v58, null, v56, v53, s11
	s_delay_alu instid0(VALU_DEP_3)
	.loc	1 71 31                         ; persistent_matmul.py:71:31
	v_or_b32_e32 v54, v54, v59
	.loc	1 74 25                         ; persistent_matmul.py:74:25
	global_store_b8 v[57:58], v54, off
.LBB0_158:                              ;   in Loop: Header=BB0_69 Depth=1
	.loc	1 0 25 is_stmt 0                ; persistent_matmul.py:0:25
	s_or_b32 exec_lo, exec_lo, s12
	.loc	1 67 41 is_stmt 1               ; persistent_matmul.py:67:41
	v_or_b32_e32 v57, s48, v78
	s_delay_alu instid0(VALU_DEP_1)
	.loc	1 68 68                         ; persistent_matmul.py:68:68
	v_mul_lo_u32 v54, v57, s19
	.loc	1 69 62                         ; persistent_matmul.py:69:62
	v_cmp_gt_i32_e64 s11, s23, v57
	.loc	1 69 43 is_stmt 0               ; persistent_matmul.py:69:43
	s_and_b32 s12, s10, s11
	.loc	1 68 56 is_stmt 1               ; persistent_matmul.py:68:56
	v_ashrrev_i32_e32 v57, 31, v54
	.loc	1 74 25                         ; persistent_matmul.py:74:25
	s_and_saveexec_b32 s13, s12
	s_cbranch_execz .LBB0_160
; %bb.159:                              ;   in Loop: Header=BB0_69 Depth=1
	.loc	1 71 31                         ; persistent_matmul.py:71:31
	v_and_b32_e32 v58, 0x7fffffff, v19
	v_lshrrev_b32_e32 v60, 24, v19
	s_delay_alu instid0(VALU_DEP_2) | instskip(SKIP_1) | instid1(VALU_DEP_3)
	v_bfe_u32 v59, v58, 20, 1
	v_cmp_gt_u32_e64 s12, 0x43e80000, v58
	v_and_b32_e32 v60, 0x80, v60
	s_delay_alu instid0(VALU_DEP_3) | instskip(NEXT) | instid1(VALU_DEP_1)
	v_add3_u32 v59, v58, v59, 0x7ffff
	v_and_b32_e32 v59, 0xfff00000, v59
	s_delay_alu instid0(VALU_DEP_1) | instskip(NEXT) | instid1(VALU_DEP_1)
	v_max_u32_e32 v59, 0x3c800000, v59
	v_add_nc_u32_e32 v59, 0x4000000, v59
	s_delay_alu instid0(VALU_DEP_1) | instskip(NEXT) | instid1(VALU_DEP_1)
	v_lshrrev_b32_e32 v59, 20, v59
	v_cndmask_b32_e64 v59, 0x7e, v59, s12
	v_cmp_lt_u32_e64 s12, 0x3c6fffff, v58
	s_delay_alu instid0(VALU_DEP_1) | instskip(SKIP_1) | instid1(VALU_DEP_1)
	v_cndmask_b32_e64 v59, 7, v59, s12
	v_cmp_lt_u32_e64 s12, 0x3c500000, v58
	v_cndmask_b32_e64 v59, 6, v59, s12
	v_cmp_lt_u32_e64 s12, 0x3c2fffff, v58
	s_delay_alu instid0(VALU_DEP_1) | instskip(SKIP_1) | instid1(VALU_DEP_1)
	v_cndmask_b32_e64 v59, 5, v59, s12
	v_cmp_lt_u32_e64 s12, 0x3c100000, v58
	;; [unrolled: 5-line block ×4, first 2 shown]
	v_cndmask_b32_e64 v58, 0, v59, s12
	v_cmp_o_f32_e64 s12, v19, v19
	s_delay_alu instid0(VALU_DEP_1) | instskip(SKIP_1) | instid1(VALU_DEP_1)
	v_cndmask_b32_e64 v61, 0x7f, v58, s12
	.loc	1 68 56                         ; persistent_matmul.py:68:56
	v_add_co_u32 v58, s12, v55, v54
	v_add_co_ci_u32_e64 v59, null, v56, v57, s12
	s_delay_alu instid0(VALU_DEP_3)
	.loc	1 71 31                         ; persistent_matmul.py:71:31
	v_or_b32_e32 v60, v61, v60
	.loc	1 74 25                         ; persistent_matmul.py:74:25
	global_store_b8 v[58:59], v60, off
.LBB0_160:                              ;   in Loop: Header=BB0_69 Depth=1
	.loc	1 0 25 is_stmt 0                ; persistent_matmul.py:0:25
	s_or_b32 exec_lo, exec_lo, s13
	.loc	1 67 41 is_stmt 1               ; persistent_matmul.py:67:41
	v_or_b32_e32 v59, s48, v79
	s_delay_alu instid0(VALU_DEP_1)
	.loc	1 68 68                         ; persistent_matmul.py:68:68
	v_mul_lo_u32 v58, v59, s19
	.loc	1 69 62                         ; persistent_matmul.py:69:62
	v_cmp_gt_i32_e64 s12, s23, v59
	.loc	1 69 43 is_stmt 0               ; persistent_matmul.py:69:43
	s_and_b32 s13, s10, s12
	.loc	1 68 56 is_stmt 1               ; persistent_matmul.py:68:56
	v_ashrrev_i32_e32 v59, 31, v58
	.loc	1 74 25                         ; persistent_matmul.py:74:25
	s_and_saveexec_b32 s14, s13
	s_cbranch_execz .LBB0_162
; %bb.161:                              ;   in Loop: Header=BB0_69 Depth=1
	.loc	1 71 31                         ; persistent_matmul.py:71:31
	v_and_b32_e32 v60, 0x7fffffff, v20
	v_lshrrev_b32_e32 v62, 24, v20
	s_delay_alu instid0(VALU_DEP_2) | instskip(SKIP_1) | instid1(VALU_DEP_3)
	v_bfe_u32 v61, v60, 20, 1
	v_cmp_gt_u32_e64 s13, 0x43e80000, v60
	v_and_b32_e32 v62, 0x80, v62
	s_delay_alu instid0(VALU_DEP_3) | instskip(NEXT) | instid1(VALU_DEP_1)
	v_add3_u32 v61, v60, v61, 0x7ffff
	v_and_b32_e32 v61, 0xfff00000, v61
	s_delay_alu instid0(VALU_DEP_1) | instskip(NEXT) | instid1(VALU_DEP_1)
	v_max_u32_e32 v61, 0x3c800000, v61
	v_add_nc_u32_e32 v61, 0x4000000, v61
	s_delay_alu instid0(VALU_DEP_1) | instskip(NEXT) | instid1(VALU_DEP_1)
	v_lshrrev_b32_e32 v61, 20, v61
	v_cndmask_b32_e64 v61, 0x7e, v61, s13
	v_cmp_lt_u32_e64 s13, 0x3c6fffff, v60
	s_delay_alu instid0(VALU_DEP_1) | instskip(SKIP_1) | instid1(VALU_DEP_1)
	v_cndmask_b32_e64 v61, 7, v61, s13
	v_cmp_lt_u32_e64 s13, 0x3c500000, v60
	v_cndmask_b32_e64 v61, 6, v61, s13
	v_cmp_lt_u32_e64 s13, 0x3c2fffff, v60
	s_delay_alu instid0(VALU_DEP_1) | instskip(SKIP_1) | instid1(VALU_DEP_1)
	v_cndmask_b32_e64 v61, 5, v61, s13
	v_cmp_lt_u32_e64 s13, 0x3c100000, v60
	;; [unrolled: 5-line block ×4, first 2 shown]
	v_cndmask_b32_e64 v60, 0, v61, s13
	v_cmp_o_f32_e64 s13, v20, v20
	s_delay_alu instid0(VALU_DEP_1) | instskip(SKIP_1) | instid1(VALU_DEP_1)
	v_cndmask_b32_e64 v63, 0x7f, v60, s13
	.loc	1 68 56                         ; persistent_matmul.py:68:56
	v_add_co_u32 v60, s13, v55, v58
	v_add_co_ci_u32_e64 v61, null, v56, v59, s13
	s_delay_alu instid0(VALU_DEP_3)
	.loc	1 71 31                         ; persistent_matmul.py:71:31
	v_or_b32_e32 v62, v63, v62
	.loc	1 74 25                         ; persistent_matmul.py:74:25
	global_store_b8 v[60:61], v62, off
.LBB0_162:                              ;   in Loop: Header=BB0_69 Depth=1
	.loc	1 0 25 is_stmt 0                ; persistent_matmul.py:0:25
	s_or_b32 exec_lo, exec_lo, s14
	.loc	1 67 41 is_stmt 1               ; persistent_matmul.py:67:41
	v_or_b32_e32 v61, s48, v80
	s_delay_alu instid0(VALU_DEP_1)
	.loc	1 68 68                         ; persistent_matmul.py:68:68
	v_mul_lo_u32 v60, v61, s19
	.loc	1 69 62                         ; persistent_matmul.py:69:62
	v_cmp_gt_i32_e64 s13, s23, v61
	.loc	1 69 43 is_stmt 0               ; persistent_matmul.py:69:43
	s_and_b32 s14, s10, s13
	.loc	1 68 56 is_stmt 1               ; persistent_matmul.py:68:56
	v_ashrrev_i32_e32 v61, 31, v60
	.loc	1 74 25                         ; persistent_matmul.py:74:25
	s_and_saveexec_b32 s16, s14
	s_cbranch_execz .LBB0_164
; %bb.163:                              ;   in Loop: Header=BB0_69 Depth=1
	.loc	1 71 31                         ; persistent_matmul.py:71:31
	v_and_b32_e32 v62, 0x7fffffff, v21
	v_lshrrev_b32_e32 v180, 24, v21
	s_delay_alu instid0(VALU_DEP_2) | instskip(SKIP_1) | instid1(VALU_DEP_3)
	v_bfe_u32 v63, v62, 20, 1
	v_cmp_gt_u32_e64 s14, 0x43e80000, v62
	v_and_b32_e32 v180, 0x80, v180
	s_delay_alu instid0(VALU_DEP_3) | instskip(NEXT) | instid1(VALU_DEP_1)
	v_add3_u32 v63, v62, v63, 0x7ffff
	v_and_b32_e32 v63, 0xfff00000, v63
	s_delay_alu instid0(VALU_DEP_1) | instskip(NEXT) | instid1(VALU_DEP_1)
	v_max_u32_e32 v63, 0x3c800000, v63
	v_add_nc_u32_e32 v63, 0x4000000, v63
	s_delay_alu instid0(VALU_DEP_1) | instskip(NEXT) | instid1(VALU_DEP_1)
	v_lshrrev_b32_e32 v63, 20, v63
	v_cndmask_b32_e64 v63, 0x7e, v63, s14
	v_cmp_lt_u32_e64 s14, 0x3c6fffff, v62
	s_delay_alu instid0(VALU_DEP_1) | instskip(SKIP_1) | instid1(VALU_DEP_1)
	v_cndmask_b32_e64 v63, 7, v63, s14
	v_cmp_lt_u32_e64 s14, 0x3c500000, v62
	v_cndmask_b32_e64 v63, 6, v63, s14
	v_cmp_lt_u32_e64 s14, 0x3c2fffff, v62
	s_delay_alu instid0(VALU_DEP_1) | instskip(SKIP_1) | instid1(VALU_DEP_1)
	v_cndmask_b32_e64 v63, 5, v63, s14
	v_cmp_lt_u32_e64 s14, 0x3c100000, v62
	;; [unrolled: 5-line block ×4, first 2 shown]
	v_cndmask_b32_e64 v62, 0, v63, s14
	v_cmp_o_f32_e64 s14, v21, v21
	s_delay_alu instid0(VALU_DEP_1) | instskip(SKIP_1) | instid1(VALU_DEP_1)
	v_cndmask_b32_e64 v181, 0x7f, v62, s14
	.loc	1 68 56                         ; persistent_matmul.py:68:56
	v_add_co_u32 v62, s14, v55, v60
	v_add_co_ci_u32_e64 v63, null, v56, v61, s14
	s_delay_alu instid0(VALU_DEP_3)
	.loc	1 71 31                         ; persistent_matmul.py:71:31
	v_or_b32_e32 v180, v181, v180
	.loc	1 74 25                         ; persistent_matmul.py:74:25
	global_store_b8 v[62:63], v180, off
.LBB0_164:                              ;   in Loop: Header=BB0_69 Depth=1
	.loc	1 0 25 is_stmt 0                ; persistent_matmul.py:0:25
	s_or_b32 exec_lo, exec_lo, s16
	.loc	1 67 41 is_stmt 1               ; persistent_matmul.py:67:41
	v_or_b32_e32 v63, s48, v81
	s_delay_alu instid0(VALU_DEP_1)
	.loc	1 68 68                         ; persistent_matmul.py:68:68
	v_mul_lo_u32 v62, v63, s19
	.loc	1 69 62                         ; persistent_matmul.py:69:62
	v_cmp_gt_i32_e64 s14, s23, v63
	.loc	1 69 43 is_stmt 0               ; persistent_matmul.py:69:43
	s_and_b32 s16, s10, s14
	.loc	1 68 56 is_stmt 1               ; persistent_matmul.py:68:56
	v_ashrrev_i32_e32 v63, 31, v62
	.loc	1 74 25                         ; persistent_matmul.py:74:25
	s_and_saveexec_b32 s49, s16
	s_cbranch_execz .LBB0_166
; %bb.165:                              ;   in Loop: Header=BB0_69 Depth=1
	.loc	1 71 31                         ; persistent_matmul.py:71:31
	v_and_b32_e32 v180, 0x7fffffff, v22
	v_lshrrev_b32_e32 v182, 24, v22
	s_delay_alu instid0(VALU_DEP_2) | instskip(SKIP_1) | instid1(VALU_DEP_3)
	v_bfe_u32 v181, v180, 20, 1
	v_cmp_gt_u32_e64 s16, 0x43e80000, v180
	v_and_b32_e32 v182, 0x80, v182
	s_delay_alu instid0(VALU_DEP_3) | instskip(NEXT) | instid1(VALU_DEP_1)
	v_add3_u32 v181, v180, v181, 0x7ffff
	v_and_b32_e32 v181, 0xfff00000, v181
	s_delay_alu instid0(VALU_DEP_1) | instskip(NEXT) | instid1(VALU_DEP_1)
	v_max_u32_e32 v181, 0x3c800000, v181
	v_add_nc_u32_e32 v181, 0x4000000, v181
	s_delay_alu instid0(VALU_DEP_1) | instskip(NEXT) | instid1(VALU_DEP_1)
	v_lshrrev_b32_e32 v181, 20, v181
	v_cndmask_b32_e64 v181, 0x7e, v181, s16
	v_cmp_lt_u32_e64 s16, 0x3c6fffff, v180
	s_delay_alu instid0(VALU_DEP_1) | instskip(SKIP_1) | instid1(VALU_DEP_1)
	v_cndmask_b32_e64 v181, 7, v181, s16
	v_cmp_lt_u32_e64 s16, 0x3c500000, v180
	v_cndmask_b32_e64 v181, 6, v181, s16
	v_cmp_lt_u32_e64 s16, 0x3c2fffff, v180
	s_delay_alu instid0(VALU_DEP_1) | instskip(SKIP_1) | instid1(VALU_DEP_1)
	v_cndmask_b32_e64 v181, 5, v181, s16
	v_cmp_lt_u32_e64 s16, 0x3c100000, v180
	;; [unrolled: 5-line block ×4, first 2 shown]
	v_cndmask_b32_e64 v180, 0, v181, s16
	v_cmp_o_f32_e64 s16, v22, v22
	s_delay_alu instid0(VALU_DEP_1) | instskip(SKIP_1) | instid1(VALU_DEP_1)
	v_cndmask_b32_e64 v183, 0x7f, v180, s16
	.loc	1 68 56                         ; persistent_matmul.py:68:56
	v_add_co_u32 v180, s16, v55, v62
	v_add_co_ci_u32_e64 v181, null, v56, v63, s16
	s_delay_alu instid0(VALU_DEP_3)
	.loc	1 71 31                         ; persistent_matmul.py:71:31
	v_or_b32_e32 v182, v183, v182
	.loc	1 74 25                         ; persistent_matmul.py:74:25
	global_store_b8 v[180:181], v182, off
.LBB0_166:                              ;   in Loop: Header=BB0_69 Depth=1
	.loc	1 0 25 is_stmt 0                ; persistent_matmul.py:0:25
	s_or_b32 exec_lo, exec_lo, s49
	.loc	1 67 41 is_stmt 1               ; persistent_matmul.py:67:41
	v_or_b32_e32 v181, s48, v82
	s_delay_alu instid0(VALU_DEP_1)
	.loc	1 68 68                         ; persistent_matmul.py:68:68
	v_mul_lo_u32 v180, v181, s19
	.loc	1 69 62                         ; persistent_matmul.py:69:62
	v_cmp_gt_i32_e64 s16, s23, v181
	.loc	1 69 43 is_stmt 0               ; persistent_matmul.py:69:43
	s_and_b32 s10, s10, s16
	.loc	1 68 56 is_stmt 1               ; persistent_matmul.py:68:56
	v_ashrrev_i32_e32 v181, 31, v180
	.loc	1 74 25                         ; persistent_matmul.py:74:25
	s_and_saveexec_b32 s48, s10
	s_cbranch_execz .LBB0_168
; %bb.167:                              ;   in Loop: Header=BB0_69 Depth=1
	.loc	1 71 31                         ; persistent_matmul.py:71:31
	v_and_b32_e32 v182, 0x7fffffff, v23
	v_lshrrev_b32_e32 v184, 24, v23
	s_delay_alu instid0(VALU_DEP_2) | instskip(SKIP_1) | instid1(VALU_DEP_2)
	v_bfe_u32 v183, v182, 20, 1
	v_cmp_gt_u32_e64 s10, 0x43e80000, v182
	v_add3_u32 v183, v182, v183, 0x7ffff
	s_delay_alu instid0(VALU_DEP_1) | instskip(NEXT) | instid1(VALU_DEP_1)
	v_and_b32_e32 v183, 0xfff00000, v183
	v_max_u32_e32 v183, 0x3c800000, v183
	s_delay_alu instid0(VALU_DEP_1) | instskip(NEXT) | instid1(VALU_DEP_1)
	v_add_nc_u32_e32 v183, 0x4000000, v183
	v_lshrrev_b32_e32 v183, 20, v183
	s_delay_alu instid0(VALU_DEP_1) | instskip(SKIP_1) | instid1(VALU_DEP_1)
	v_cndmask_b32_e64 v183, 0x7e, v183, s10
	v_cmp_lt_u32_e64 s10, 0x3c6fffff, v182
	v_cndmask_b32_e64 v183, 7, v183, s10
	v_cmp_lt_u32_e64 s10, 0x3c500000, v182
	s_delay_alu instid0(VALU_DEP_1) | instskip(SKIP_1) | instid1(VALU_DEP_1)
	v_cndmask_b32_e64 v183, 6, v183, s10
	v_cmp_lt_u32_e64 s10, 0x3c2fffff, v182
	v_cndmask_b32_e64 v183, 5, v183, s10
	v_cmp_lt_u32_e64 s10, 0x3c100000, v182
	;; [unrolled: 5-line block ×4, first 2 shown]
	s_delay_alu instid0(VALU_DEP_1) | instskip(SKIP_2) | instid1(VALU_DEP_2)
	v_cndmask_b32_e64 v182, 0, v183, s10
	v_cmp_o_f32_e64 s10, v23, v23
	v_and_b32_e32 v183, 0x80, v184
	v_cndmask_b32_e64 v182, 0x7f, v182, s10
	.loc	1 68 56                         ; persistent_matmul.py:68:56
	v_add_co_u32 v55, s10, v55, v180
	s_delay_alu instid0(VALU_DEP_1) | instskip(NEXT) | instid1(VALU_DEP_3)
	v_add_co_ci_u32_e64 v56, null, v56, v181, s10
	.loc	1 71 31                         ; persistent_matmul.py:71:31
	v_or_b32_e32 v182, v182, v183
	.loc	1 74 25                         ; persistent_matmul.py:74:25
	global_store_b8 v[55:56], v182, off
.LBB0_168:                              ;   in Loop: Header=BB0_69 Depth=1
	.loc	1 0 25 is_stmt 0                ; persistent_matmul.py:0:25
	s_or_b32 exec_lo, exec_lo, s48
	.loc	1 66 41 is_stmt 1               ; persistent_matmul.py:66:41
	v_or_b32_e32 v55, s17, v67
	s_delay_alu instid0(VALU_DEP_1) | instskip(SKIP_4) | instid1(VALU_DEP_1)
	.loc	1 68 37                         ; persistent_matmul.py:68:37
	v_mul_lo_u32 v56, v55, s18
	.loc	1 69 37                         ; persistent_matmul.py:69:37
	v_cmp_gt_i32_e64 s10, s22, v55
	.loc	1 69 43 is_stmt 0               ; persistent_matmul.py:69:43
	s_and_b32 s48, s10, vcc_lo
	.loc	1 68 25 is_stmt 1               ; persistent_matmul.py:68:25
	v_ashrrev_i32_e32 v182, 31, v56
	v_add_co_u32 v55, s17, s20, v56
	v_add_co_ci_u32_e64 v56, null, s21, v182, s17
	.loc	1 74 25                         ; persistent_matmul.py:74:25
	s_and_saveexec_b32 s17, s48
	s_cbranch_execnz .LBB0_184
; %bb.169:                              ;   in Loop: Header=BB0_69 Depth=1
	.loc	1 0 25 is_stmt 0                ; persistent_matmul.py:0:25
	s_or_b32 exec_lo, exec_lo, s17
	.loc	1 69 43 is_stmt 1               ; persistent_matmul.py:69:43
	s_and_b32 s17, s10, s0
	s_delay_alu instid0(SALU_CYCLE_1)
	.loc	1 74 25                         ; persistent_matmul.py:74:25
	s_and_saveexec_b32 s0, s17
	s_cbranch_execnz .LBB0_185
.LBB0_170:                              ;   in Loop: Header=BB0_69 Depth=1
	.loc	1 0 25 is_stmt 0                ; persistent_matmul.py:0:25
	s_or_b32 exec_lo, exec_lo, s0
	.loc	1 69 43 is_stmt 1               ; persistent_matmul.py:69:43
	s_and_b32 s1, s10, s1
	s_delay_alu instid0(SALU_CYCLE_1)
	.loc	1 74 25                         ; persistent_matmul.py:74:25
	s_and_saveexec_b32 s0, s1
	s_cbranch_execnz .LBB0_186
.LBB0_171:                              ;   in Loop: Header=BB0_69 Depth=1
	.loc	1 0 25 is_stmt 0                ; persistent_matmul.py:0:25
	s_or_b32 exec_lo, exec_lo, s0
	.loc	1 69 43 is_stmt 1               ; persistent_matmul.py:69:43
	s_and_b32 s1, s10, s2
	s_delay_alu instid0(SALU_CYCLE_1)
	.loc	1 74 25                         ; persistent_matmul.py:74:25
	s_and_saveexec_b32 s0, s1
	s_cbranch_execnz .LBB0_187
.LBB0_172:                              ;   in Loop: Header=BB0_69 Depth=1
	.loc	1 0 25 is_stmt 0                ; persistent_matmul.py:0:25
	s_or_b32 exec_lo, exec_lo, s0
	.loc	1 69 43 is_stmt 1               ; persistent_matmul.py:69:43
	s_and_b32 s1, s10, s3
	s_delay_alu instid0(SALU_CYCLE_1)
	.loc	1 74 25                         ; persistent_matmul.py:74:25
	s_and_saveexec_b32 s0, s1
	s_cbranch_execnz .LBB0_188
.LBB0_173:                              ;   in Loop: Header=BB0_69 Depth=1
	.loc	1 0 25 is_stmt 0                ; persistent_matmul.py:0:25
	s_or_b32 exec_lo, exec_lo, s0
	.loc	1 69 43 is_stmt 1               ; persistent_matmul.py:69:43
	s_and_b32 s1, s10, s4
	s_delay_alu instid0(SALU_CYCLE_1)
	.loc	1 74 25                         ; persistent_matmul.py:74:25
	s_and_saveexec_b32 s0, s1
	s_cbranch_execnz .LBB0_189
.LBB0_174:                              ;   in Loop: Header=BB0_69 Depth=1
	.loc	1 0 25 is_stmt 0                ; persistent_matmul.py:0:25
	s_or_b32 exec_lo, exec_lo, s0
	.loc	1 69 43 is_stmt 1               ; persistent_matmul.py:69:43
	s_and_b32 s1, s10, s5
	s_delay_alu instid0(SALU_CYCLE_1)
	.loc	1 74 25                         ; persistent_matmul.py:74:25
	s_and_saveexec_b32 s0, s1
	s_cbranch_execnz .LBB0_190
.LBB0_175:                              ;   in Loop: Header=BB0_69 Depth=1
	.loc	1 0 25 is_stmt 0                ; persistent_matmul.py:0:25
	s_or_b32 exec_lo, exec_lo, s0
	.loc	1 69 43 is_stmt 1               ; persistent_matmul.py:69:43
	s_and_b32 s1, s10, s6
	s_delay_alu instid0(SALU_CYCLE_1)
	.loc	1 74 25                         ; persistent_matmul.py:74:25
	s_and_saveexec_b32 s0, s1
	s_cbranch_execnz .LBB0_191
.LBB0_176:                              ;   in Loop: Header=BB0_69 Depth=1
	.loc	1 0 25 is_stmt 0                ; persistent_matmul.py:0:25
	s_or_b32 exec_lo, exec_lo, s0
	.loc	1 69 43 is_stmt 1               ; persistent_matmul.py:69:43
	s_and_b32 s1, s10, s7
	s_delay_alu instid0(SALU_CYCLE_1)
	.loc	1 74 25                         ; persistent_matmul.py:74:25
	s_and_saveexec_b32 s0, s1
	s_cbranch_execnz .LBB0_192
.LBB0_177:                              ;   in Loop: Header=BB0_69 Depth=1
	.loc	1 0 25 is_stmt 0                ; persistent_matmul.py:0:25
	s_or_b32 exec_lo, exec_lo, s0
	.loc	1 69 43 is_stmt 1               ; persistent_matmul.py:69:43
	s_and_b32 s1, s10, s8
	s_delay_alu instid0(SALU_CYCLE_1)
	.loc	1 74 25                         ; persistent_matmul.py:74:25
	s_and_saveexec_b32 s0, s1
	s_cbranch_execnz .LBB0_193
.LBB0_178:                              ;   in Loop: Header=BB0_69 Depth=1
	.loc	1 0 25 is_stmt 0                ; persistent_matmul.py:0:25
	s_or_b32 exec_lo, exec_lo, s0
	.loc	1 69 43 is_stmt 1               ; persistent_matmul.py:69:43
	s_and_b32 s1, s10, s9
	s_delay_alu instid0(SALU_CYCLE_1)
	.loc	1 74 25                         ; persistent_matmul.py:74:25
	s_and_saveexec_b32 s0, s1
	s_cbranch_execnz .LBB0_194
.LBB0_179:                              ;   in Loop: Header=BB0_69 Depth=1
	.loc	1 0 25 is_stmt 0                ; persistent_matmul.py:0:25
	s_or_b32 exec_lo, exec_lo, s0
	.loc	1 69 43 is_stmt 1               ; persistent_matmul.py:69:43
	s_and_b32 s1, s10, s11
	s_delay_alu instid0(SALU_CYCLE_1)
	.loc	1 74 25                         ; persistent_matmul.py:74:25
	s_and_saveexec_b32 s0, s1
	s_cbranch_execnz .LBB0_195
.LBB0_180:                              ;   in Loop: Header=BB0_69 Depth=1
	.loc	1 0 25 is_stmt 0                ; persistent_matmul.py:0:25
	s_or_b32 exec_lo, exec_lo, s0
	.loc	1 69 43 is_stmt 1               ; persistent_matmul.py:69:43
	s_and_b32 s1, s10, s12
	s_delay_alu instid0(SALU_CYCLE_1)
	.loc	1 74 25                         ; persistent_matmul.py:74:25
	s_and_saveexec_b32 s0, s1
	s_cbranch_execnz .LBB0_196
.LBB0_181:                              ;   in Loop: Header=BB0_69 Depth=1
	.loc	1 0 25 is_stmt 0                ; persistent_matmul.py:0:25
	s_or_b32 exec_lo, exec_lo, s0
	.loc	1 69 43 is_stmt 1               ; persistent_matmul.py:69:43
	s_and_b32 s1, s10, s13
	s_delay_alu instid0(SALU_CYCLE_1)
	.loc	1 74 25                         ; persistent_matmul.py:74:25
	s_and_saveexec_b32 s0, s1
	s_cbranch_execnz .LBB0_197
.LBB0_182:                              ;   in Loop: Header=BB0_69 Depth=1
	.loc	1 0 25 is_stmt 0                ; persistent_matmul.py:0:25
	s_or_b32 exec_lo, exec_lo, s0
	.loc	1 69 43 is_stmt 1               ; persistent_matmul.py:69:43
	s_and_b32 s1, s10, s14
	s_delay_alu instid0(SALU_CYCLE_1)
	.loc	1 74 25                         ; persistent_matmul.py:74:25
	s_and_saveexec_b32 s0, s1
	s_cbranch_execnz .LBB0_198
.LBB0_183:                              ;   in Loop: Header=BB0_69 Depth=1
	.loc	1 0 25 is_stmt 0                ; persistent_matmul.py:0:25
	s_or_b32 exec_lo, exec_lo, s0
	.loc	1 69 43 is_stmt 1               ; persistent_matmul.py:69:43
	s_and_b32 s1, s10, s16
	s_delay_alu instid0(SALU_CYCLE_1)
	.loc	1 74 25                         ; persistent_matmul.py:74:25
	s_and_saveexec_b32 s0, s1
	s_cbranch_execz .LBB0_67
	s_branch .LBB0_199
.LBB0_184:                              ;   in Loop: Header=BB0_69 Depth=1
	.loc	1 71 31                         ; persistent_matmul.py:71:31
	v_and_b32_e32 v182, 0x7fffffff, v8
	v_lshrrev_b32_e32 v184, 24, v8
	s_delay_alu instid0(VALU_DEP_2) | instskip(SKIP_1) | instid1(VALU_DEP_2)
	v_bfe_u32 v183, v182, 20, 1
	v_cmp_gt_u32_e32 vcc_lo, 0x43e80000, v182
	v_add3_u32 v183, v182, v183, 0x7ffff
	s_delay_alu instid0(VALU_DEP_1) | instskip(NEXT) | instid1(VALU_DEP_1)
	v_and_b32_e32 v183, 0xfff00000, v183
	v_max_u32_e32 v183, 0x3c800000, v183
	s_delay_alu instid0(VALU_DEP_1) | instskip(NEXT) | instid1(VALU_DEP_1)
	v_add_nc_u32_e32 v183, 0x4000000, v183
	v_lshrrev_b32_e32 v183, 20, v183
	s_delay_alu instid0(VALU_DEP_1) | instskip(SKIP_1) | instid1(VALU_DEP_2)
	v_cndmask_b32_e32 v183, 0x7e, v183, vcc_lo
	v_cmp_lt_u32_e32 vcc_lo, 0x3c6fffff, v182
	v_cndmask_b32_e32 v183, 7, v183, vcc_lo
	v_cmp_lt_u32_e32 vcc_lo, 0x3c500000, v182
	s_delay_alu instid0(VALU_DEP_2) | instskip(SKIP_1) | instid1(VALU_DEP_2)
	v_cndmask_b32_e32 v183, 6, v183, vcc_lo
	v_cmp_lt_u32_e32 vcc_lo, 0x3c2fffff, v182
	v_cndmask_b32_e32 v183, 5, v183, vcc_lo
	v_cmp_lt_u32_e32 vcc_lo, 0x3c100000, v182
	s_delay_alu instid0(VALU_DEP_2) | instskip(SKIP_1) | instid1(VALU_DEP_2)
	;; [unrolled: 5-line block ×4, first 2 shown]
	v_dual_cndmask_b32 v182, 0, v183 :: v_dual_and_b32 v183, 0x80, v184
	v_cmp_o_f32_e32 vcc_lo, v8, v8
	v_cndmask_b32_e32 v182, 0x7f, v182, vcc_lo
	.loc	1 68 56                         ; persistent_matmul.py:68:56
	v_add_co_u32 v32, vcc_lo, v55, v32
	s_delay_alu instid0(VALU_DEP_1) | instskip(NEXT) | instid1(VALU_DEP_3)
	v_add_co_ci_u32_e64 v33, null, v56, v33, vcc_lo
	.loc	1 71 31                         ; persistent_matmul.py:71:31
	v_or_b32_e32 v182, v182, v183
	.loc	1 74 25                         ; persistent_matmul.py:74:25
	global_store_b8 v[32:33], v182, off
	s_or_b32 exec_lo, exec_lo, s17
	.loc	1 69 43                         ; persistent_matmul.py:69:43
	s_and_b32 s17, s10, s0
	s_delay_alu instid0(SALU_CYCLE_1)
	.loc	1 74 25                         ; persistent_matmul.py:74:25
	s_and_saveexec_b32 s0, s17
	s_cbranch_execz .LBB0_170
.LBB0_185:                              ;   in Loop: Header=BB0_69 Depth=1
	.loc	1 71 31                         ; persistent_matmul.py:71:31
	v_and_b32_e32 v32, 0x7fffffff, v9
	v_lshrrev_b32_e32 v182, 24, v9
	s_delay_alu instid0(VALU_DEP_2) | instskip(SKIP_1) | instid1(VALU_DEP_3)
	v_bfe_u32 v33, v32, 20, 1
	v_cmp_gt_u32_e32 vcc_lo, 0x43e80000, v32
	v_and_b32_e32 v182, 0x80, v182
	s_delay_alu instid0(VALU_DEP_3) | instskip(NEXT) | instid1(VALU_DEP_1)
	v_add3_u32 v33, v32, v33, 0x7ffff
	v_and_b32_e32 v33, 0xfff00000, v33
	s_delay_alu instid0(VALU_DEP_1) | instskip(NEXT) | instid1(VALU_DEP_1)
	v_max_u32_e32 v33, 0x3c800000, v33
	v_add_nc_u32_e32 v33, 0x4000000, v33
	s_delay_alu instid0(VALU_DEP_1) | instskip(NEXT) | instid1(VALU_DEP_1)
	v_lshrrev_b32_e32 v33, 20, v33
	v_cndmask_b32_e32 v33, 0x7e, v33, vcc_lo
	v_cmp_lt_u32_e32 vcc_lo, 0x3c6fffff, v32
	s_delay_alu instid0(VALU_DEP_2) | instskip(SKIP_1) | instid1(VALU_DEP_2)
	v_cndmask_b32_e32 v33, 7, v33, vcc_lo
	v_cmp_lt_u32_e32 vcc_lo, 0x3c500000, v32
	v_cndmask_b32_e32 v33, 6, v33, vcc_lo
	v_cmp_lt_u32_e32 vcc_lo, 0x3c2fffff, v32
	s_delay_alu instid0(VALU_DEP_2) | instskip(SKIP_1) | instid1(VALU_DEP_2)
	v_cndmask_b32_e32 v33, 5, v33, vcc_lo
	v_cmp_lt_u32_e32 vcc_lo, 0x3c100000, v32
	;; [unrolled: 5-line block ×4, first 2 shown]
	v_cndmask_b32_e32 v32, 0, v33, vcc_lo
	v_cmp_o_f32_e32 vcc_lo, v9, v9
	s_delay_alu instid0(VALU_DEP_2) | instskip(SKIP_1) | instid1(VALU_DEP_1)
	v_cndmask_b32_e32 v183, 0x7f, v32, vcc_lo
	.loc	1 68 56                         ; persistent_matmul.py:68:56
	v_add_co_u32 v32, vcc_lo, v55, v34
	v_add_co_ci_u32_e64 v33, null, v56, v35, vcc_lo
	s_delay_alu instid0(VALU_DEP_3) | instskip(SKIP_3) | instid1(SALU_CYCLE_1)
	.loc	1 71 31                         ; persistent_matmul.py:71:31
	v_or_b32_e32 v34, v183, v182
	.loc	1 74 25                         ; persistent_matmul.py:74:25
	global_store_b8 v[32:33], v34, off
	s_or_b32 exec_lo, exec_lo, s0
	.loc	1 69 43                         ; persistent_matmul.py:69:43
	s_and_b32 s1, s10, s1
	.loc	1 74 25                         ; persistent_matmul.py:74:25
	s_and_saveexec_b32 s0, s1
	s_cbranch_execz .LBB0_171
.LBB0_186:                              ;   in Loop: Header=BB0_69 Depth=1
	.loc	1 71 31                         ; persistent_matmul.py:71:31
	v_and_b32_e32 v32, 0x7fffffff, v10
	v_lshrrev_b32_e32 v34, 24, v10
	s_delay_alu instid0(VALU_DEP_2) | instskip(SKIP_1) | instid1(VALU_DEP_3)
	v_bfe_u32 v33, v32, 20, 1
	v_cmp_gt_u32_e32 vcc_lo, 0x43e80000, v32
	v_and_b32_e32 v34, 0x80, v34
	s_delay_alu instid0(VALU_DEP_3) | instskip(NEXT) | instid1(VALU_DEP_1)
	v_add3_u32 v33, v32, v33, 0x7ffff
	v_and_b32_e32 v33, 0xfff00000, v33
	s_delay_alu instid0(VALU_DEP_1) | instskip(NEXT) | instid1(VALU_DEP_1)
	v_max_u32_e32 v33, 0x3c800000, v33
	v_add_nc_u32_e32 v33, 0x4000000, v33
	s_delay_alu instid0(VALU_DEP_1) | instskip(NEXT) | instid1(VALU_DEP_1)
	v_lshrrev_b32_e32 v33, 20, v33
	v_cndmask_b32_e32 v33, 0x7e, v33, vcc_lo
	v_cmp_lt_u32_e32 vcc_lo, 0x3c6fffff, v32
	s_delay_alu instid0(VALU_DEP_2) | instskip(SKIP_1) | instid1(VALU_DEP_2)
	v_cndmask_b32_e32 v33, 7, v33, vcc_lo
	v_cmp_lt_u32_e32 vcc_lo, 0x3c500000, v32
	v_cndmask_b32_e32 v33, 6, v33, vcc_lo
	v_cmp_lt_u32_e32 vcc_lo, 0x3c2fffff, v32
	s_delay_alu instid0(VALU_DEP_2) | instskip(SKIP_1) | instid1(VALU_DEP_2)
	v_cndmask_b32_e32 v33, 5, v33, vcc_lo
	v_cmp_lt_u32_e32 vcc_lo, 0x3c100000, v32
	;; [unrolled: 5-line block ×4, first 2 shown]
	v_cndmask_b32_e32 v32, 0, v33, vcc_lo
	v_cmp_o_f32_e32 vcc_lo, v10, v10
	s_delay_alu instid0(VALU_DEP_2) | instskip(SKIP_1) | instid1(VALU_DEP_1)
	v_cndmask_b32_e32 v35, 0x7f, v32, vcc_lo
	.loc	1 68 56                         ; persistent_matmul.py:68:56
	v_add_co_u32 v32, vcc_lo, v55, v36
	v_add_co_ci_u32_e64 v33, null, v56, v37, vcc_lo
	s_delay_alu instid0(VALU_DEP_3) | instskip(SKIP_3) | instid1(SALU_CYCLE_1)
	.loc	1 71 31                         ; persistent_matmul.py:71:31
	v_or_b32_e32 v34, v35, v34
	.loc	1 74 25                         ; persistent_matmul.py:74:25
	global_store_b8 v[32:33], v34, off
	s_or_b32 exec_lo, exec_lo, s0
	.loc	1 69 43                         ; persistent_matmul.py:69:43
	s_and_b32 s1, s10, s2
	.loc	1 74 25                         ; persistent_matmul.py:74:25
	s_and_saveexec_b32 s0, s1
	s_cbranch_execz .LBB0_172
.LBB0_187:                              ;   in Loop: Header=BB0_69 Depth=1
	.loc	1 71 31                         ; persistent_matmul.py:71:31
	v_and_b32_e32 v32, 0x7fffffff, v11
	v_lshrrev_b32_e32 v34, 24, v11
	s_delay_alu instid0(VALU_DEP_2) | instskip(SKIP_1) | instid1(VALU_DEP_3)
	v_bfe_u32 v33, v32, 20, 1
	v_cmp_gt_u32_e32 vcc_lo, 0x43e80000, v32
	v_and_b32_e32 v34, 0x80, v34
	s_delay_alu instid0(VALU_DEP_3) | instskip(NEXT) | instid1(VALU_DEP_1)
	v_add3_u32 v33, v32, v33, 0x7ffff
	v_and_b32_e32 v33, 0xfff00000, v33
	s_delay_alu instid0(VALU_DEP_1) | instskip(NEXT) | instid1(VALU_DEP_1)
	v_max_u32_e32 v33, 0x3c800000, v33
	v_add_nc_u32_e32 v33, 0x4000000, v33
	s_delay_alu instid0(VALU_DEP_1) | instskip(NEXT) | instid1(VALU_DEP_1)
	v_lshrrev_b32_e32 v33, 20, v33
	v_cndmask_b32_e32 v33, 0x7e, v33, vcc_lo
	v_cmp_lt_u32_e32 vcc_lo, 0x3c6fffff, v32
	s_delay_alu instid0(VALU_DEP_2) | instskip(SKIP_1) | instid1(VALU_DEP_2)
	v_cndmask_b32_e32 v33, 7, v33, vcc_lo
	v_cmp_lt_u32_e32 vcc_lo, 0x3c500000, v32
	v_cndmask_b32_e32 v33, 6, v33, vcc_lo
	v_cmp_lt_u32_e32 vcc_lo, 0x3c2fffff, v32
	s_delay_alu instid0(VALU_DEP_2) | instskip(SKIP_1) | instid1(VALU_DEP_2)
	v_cndmask_b32_e32 v33, 5, v33, vcc_lo
	v_cmp_lt_u32_e32 vcc_lo, 0x3c100000, v32
	;; [unrolled: 5-line block ×4, first 2 shown]
	v_cndmask_b32_e32 v32, 0, v33, vcc_lo
	v_cmp_o_f32_e32 vcc_lo, v11, v11
	s_delay_alu instid0(VALU_DEP_2) | instskip(SKIP_1) | instid1(VALU_DEP_1)
	v_cndmask_b32_e32 v35, 0x7f, v32, vcc_lo
	.loc	1 68 56                         ; persistent_matmul.py:68:56
	v_add_co_u32 v32, vcc_lo, v55, v38
	v_add_co_ci_u32_e64 v33, null, v56, v39, vcc_lo
	s_delay_alu instid0(VALU_DEP_3) | instskip(SKIP_3) | instid1(SALU_CYCLE_1)
	.loc	1 71 31                         ; persistent_matmul.py:71:31
	v_or_b32_e32 v34, v35, v34
	.loc	1 74 25                         ; persistent_matmul.py:74:25
	global_store_b8 v[32:33], v34, off
	s_or_b32 exec_lo, exec_lo, s0
	.loc	1 69 43                         ; persistent_matmul.py:69:43
	s_and_b32 s1, s10, s3
	.loc	1 74 25                         ; persistent_matmul.py:74:25
	s_and_saveexec_b32 s0, s1
	s_cbranch_execz .LBB0_173
.LBB0_188:                              ;   in Loop: Header=BB0_69 Depth=1
	.loc	1 71 31                         ; persistent_matmul.py:71:31
	v_and_b32_e32 v32, 0x7fffffff, v12
	v_lshrrev_b32_e32 v34, 24, v12
	s_delay_alu instid0(VALU_DEP_2) | instskip(SKIP_1) | instid1(VALU_DEP_3)
	v_bfe_u32 v33, v32, 20, 1
	v_cmp_gt_u32_e32 vcc_lo, 0x43e80000, v32
	v_and_b32_e32 v34, 0x80, v34
	s_delay_alu instid0(VALU_DEP_3) | instskip(NEXT) | instid1(VALU_DEP_1)
	v_add3_u32 v33, v32, v33, 0x7ffff
	v_and_b32_e32 v33, 0xfff00000, v33
	s_delay_alu instid0(VALU_DEP_1) | instskip(NEXT) | instid1(VALU_DEP_1)
	v_max_u32_e32 v33, 0x3c800000, v33
	v_add_nc_u32_e32 v33, 0x4000000, v33
	s_delay_alu instid0(VALU_DEP_1) | instskip(NEXT) | instid1(VALU_DEP_1)
	v_lshrrev_b32_e32 v33, 20, v33
	v_cndmask_b32_e32 v33, 0x7e, v33, vcc_lo
	v_cmp_lt_u32_e32 vcc_lo, 0x3c6fffff, v32
	s_delay_alu instid0(VALU_DEP_2) | instskip(SKIP_1) | instid1(VALU_DEP_2)
	v_cndmask_b32_e32 v33, 7, v33, vcc_lo
	v_cmp_lt_u32_e32 vcc_lo, 0x3c500000, v32
	v_cndmask_b32_e32 v33, 6, v33, vcc_lo
	v_cmp_lt_u32_e32 vcc_lo, 0x3c2fffff, v32
	s_delay_alu instid0(VALU_DEP_2) | instskip(SKIP_1) | instid1(VALU_DEP_2)
	v_cndmask_b32_e32 v33, 5, v33, vcc_lo
	v_cmp_lt_u32_e32 vcc_lo, 0x3c100000, v32
	;; [unrolled: 5-line block ×4, first 2 shown]
	v_cndmask_b32_e32 v32, 0, v33, vcc_lo
	v_cmp_o_f32_e32 vcc_lo, v12, v12
	s_delay_alu instid0(VALU_DEP_2) | instskip(SKIP_1) | instid1(VALU_DEP_1)
	v_cndmask_b32_e32 v35, 0x7f, v32, vcc_lo
	.loc	1 68 56                         ; persistent_matmul.py:68:56
	v_add_co_u32 v32, vcc_lo, v55, v40
	v_add_co_ci_u32_e64 v33, null, v56, v41, vcc_lo
	s_delay_alu instid0(VALU_DEP_3) | instskip(SKIP_3) | instid1(SALU_CYCLE_1)
	.loc	1 71 31                         ; persistent_matmul.py:71:31
	v_or_b32_e32 v34, v35, v34
	.loc	1 74 25                         ; persistent_matmul.py:74:25
	global_store_b8 v[32:33], v34, off
	s_or_b32 exec_lo, exec_lo, s0
	.loc	1 69 43                         ; persistent_matmul.py:69:43
	s_and_b32 s1, s10, s4
	.loc	1 74 25                         ; persistent_matmul.py:74:25
	s_and_saveexec_b32 s0, s1
	s_cbranch_execz .LBB0_174
.LBB0_189:                              ;   in Loop: Header=BB0_69 Depth=1
	.loc	1 71 31                         ; persistent_matmul.py:71:31
	v_and_b32_e32 v32, 0x7fffffff, v13
	v_lshrrev_b32_e32 v34, 24, v13
	s_delay_alu instid0(VALU_DEP_2) | instskip(SKIP_1) | instid1(VALU_DEP_3)
	v_bfe_u32 v33, v32, 20, 1
	v_cmp_gt_u32_e32 vcc_lo, 0x43e80000, v32
	v_and_b32_e32 v34, 0x80, v34
	s_delay_alu instid0(VALU_DEP_3) | instskip(NEXT) | instid1(VALU_DEP_1)
	v_add3_u32 v33, v32, v33, 0x7ffff
	v_and_b32_e32 v33, 0xfff00000, v33
	s_delay_alu instid0(VALU_DEP_1) | instskip(NEXT) | instid1(VALU_DEP_1)
	v_max_u32_e32 v33, 0x3c800000, v33
	v_add_nc_u32_e32 v33, 0x4000000, v33
	s_delay_alu instid0(VALU_DEP_1) | instskip(NEXT) | instid1(VALU_DEP_1)
	v_lshrrev_b32_e32 v33, 20, v33
	v_cndmask_b32_e32 v33, 0x7e, v33, vcc_lo
	v_cmp_lt_u32_e32 vcc_lo, 0x3c6fffff, v32
	s_delay_alu instid0(VALU_DEP_2) | instskip(SKIP_1) | instid1(VALU_DEP_2)
	v_cndmask_b32_e32 v33, 7, v33, vcc_lo
	v_cmp_lt_u32_e32 vcc_lo, 0x3c500000, v32
	v_cndmask_b32_e32 v33, 6, v33, vcc_lo
	v_cmp_lt_u32_e32 vcc_lo, 0x3c2fffff, v32
	s_delay_alu instid0(VALU_DEP_2) | instskip(SKIP_1) | instid1(VALU_DEP_2)
	v_cndmask_b32_e32 v33, 5, v33, vcc_lo
	v_cmp_lt_u32_e32 vcc_lo, 0x3c100000, v32
	;; [unrolled: 5-line block ×4, first 2 shown]
	v_cndmask_b32_e32 v32, 0, v33, vcc_lo
	v_cmp_o_f32_e32 vcc_lo, v13, v13
	s_delay_alu instid0(VALU_DEP_2) | instskip(SKIP_1) | instid1(VALU_DEP_1)
	v_cndmask_b32_e32 v35, 0x7f, v32, vcc_lo
	.loc	1 68 56                         ; persistent_matmul.py:68:56
	v_add_co_u32 v32, vcc_lo, v55, v42
	v_add_co_ci_u32_e64 v33, null, v56, v43, vcc_lo
	s_delay_alu instid0(VALU_DEP_3) | instskip(SKIP_3) | instid1(SALU_CYCLE_1)
	.loc	1 71 31                         ; persistent_matmul.py:71:31
	v_or_b32_e32 v34, v35, v34
	.loc	1 74 25                         ; persistent_matmul.py:74:25
	global_store_b8 v[32:33], v34, off
	s_or_b32 exec_lo, exec_lo, s0
	.loc	1 69 43                         ; persistent_matmul.py:69:43
	s_and_b32 s1, s10, s5
	.loc	1 74 25                         ; persistent_matmul.py:74:25
	s_and_saveexec_b32 s0, s1
	s_cbranch_execz .LBB0_175
.LBB0_190:                              ;   in Loop: Header=BB0_69 Depth=1
	.loc	1 71 31                         ; persistent_matmul.py:71:31
	v_and_b32_e32 v32, 0x7fffffff, v14
	v_lshrrev_b32_e32 v34, 24, v14
	s_delay_alu instid0(VALU_DEP_2) | instskip(SKIP_1) | instid1(VALU_DEP_3)
	v_bfe_u32 v33, v32, 20, 1
	v_cmp_gt_u32_e32 vcc_lo, 0x43e80000, v32
	v_and_b32_e32 v34, 0x80, v34
	s_delay_alu instid0(VALU_DEP_3) | instskip(NEXT) | instid1(VALU_DEP_1)
	v_add3_u32 v33, v32, v33, 0x7ffff
	v_and_b32_e32 v33, 0xfff00000, v33
	s_delay_alu instid0(VALU_DEP_1) | instskip(NEXT) | instid1(VALU_DEP_1)
	v_max_u32_e32 v33, 0x3c800000, v33
	v_add_nc_u32_e32 v33, 0x4000000, v33
	s_delay_alu instid0(VALU_DEP_1) | instskip(NEXT) | instid1(VALU_DEP_1)
	v_lshrrev_b32_e32 v33, 20, v33
	v_cndmask_b32_e32 v33, 0x7e, v33, vcc_lo
	v_cmp_lt_u32_e32 vcc_lo, 0x3c6fffff, v32
	s_delay_alu instid0(VALU_DEP_2) | instskip(SKIP_1) | instid1(VALU_DEP_2)
	v_cndmask_b32_e32 v33, 7, v33, vcc_lo
	v_cmp_lt_u32_e32 vcc_lo, 0x3c500000, v32
	v_cndmask_b32_e32 v33, 6, v33, vcc_lo
	v_cmp_lt_u32_e32 vcc_lo, 0x3c2fffff, v32
	s_delay_alu instid0(VALU_DEP_2) | instskip(SKIP_1) | instid1(VALU_DEP_2)
	v_cndmask_b32_e32 v33, 5, v33, vcc_lo
	v_cmp_lt_u32_e32 vcc_lo, 0x3c100000, v32
	;; [unrolled: 5-line block ×4, first 2 shown]
	v_cndmask_b32_e32 v32, 0, v33, vcc_lo
	v_cmp_o_f32_e32 vcc_lo, v14, v14
	s_delay_alu instid0(VALU_DEP_2) | instskip(SKIP_1) | instid1(VALU_DEP_1)
	v_cndmask_b32_e32 v35, 0x7f, v32, vcc_lo
	.loc	1 68 56                         ; persistent_matmul.py:68:56
	v_add_co_u32 v32, vcc_lo, v55, v44
	v_add_co_ci_u32_e64 v33, null, v56, v45, vcc_lo
	s_delay_alu instid0(VALU_DEP_3) | instskip(SKIP_3) | instid1(SALU_CYCLE_1)
	.loc	1 71 31                         ; persistent_matmul.py:71:31
	v_or_b32_e32 v34, v35, v34
	.loc	1 74 25                         ; persistent_matmul.py:74:25
	global_store_b8 v[32:33], v34, off
	s_or_b32 exec_lo, exec_lo, s0
	.loc	1 69 43                         ; persistent_matmul.py:69:43
	s_and_b32 s1, s10, s6
	.loc	1 74 25                         ; persistent_matmul.py:74:25
	s_and_saveexec_b32 s0, s1
	s_cbranch_execz .LBB0_176
.LBB0_191:                              ;   in Loop: Header=BB0_69 Depth=1
	.loc	1 71 31                         ; persistent_matmul.py:71:31
	v_and_b32_e32 v32, 0x7fffffff, v15
	v_lshrrev_b32_e32 v34, 24, v15
	s_delay_alu instid0(VALU_DEP_2) | instskip(SKIP_1) | instid1(VALU_DEP_3)
	v_bfe_u32 v33, v32, 20, 1
	v_cmp_gt_u32_e32 vcc_lo, 0x43e80000, v32
	v_and_b32_e32 v34, 0x80, v34
	s_delay_alu instid0(VALU_DEP_3) | instskip(NEXT) | instid1(VALU_DEP_1)
	v_add3_u32 v33, v32, v33, 0x7ffff
	v_and_b32_e32 v33, 0xfff00000, v33
	s_delay_alu instid0(VALU_DEP_1) | instskip(NEXT) | instid1(VALU_DEP_1)
	v_max_u32_e32 v33, 0x3c800000, v33
	v_add_nc_u32_e32 v33, 0x4000000, v33
	s_delay_alu instid0(VALU_DEP_1) | instskip(NEXT) | instid1(VALU_DEP_1)
	v_lshrrev_b32_e32 v33, 20, v33
	v_cndmask_b32_e32 v33, 0x7e, v33, vcc_lo
	v_cmp_lt_u32_e32 vcc_lo, 0x3c6fffff, v32
	s_delay_alu instid0(VALU_DEP_2) | instskip(SKIP_1) | instid1(VALU_DEP_2)
	v_cndmask_b32_e32 v33, 7, v33, vcc_lo
	v_cmp_lt_u32_e32 vcc_lo, 0x3c500000, v32
	v_cndmask_b32_e32 v33, 6, v33, vcc_lo
	v_cmp_lt_u32_e32 vcc_lo, 0x3c2fffff, v32
	s_delay_alu instid0(VALU_DEP_2) | instskip(SKIP_1) | instid1(VALU_DEP_2)
	v_cndmask_b32_e32 v33, 5, v33, vcc_lo
	v_cmp_lt_u32_e32 vcc_lo, 0x3c100000, v32
	v_cndmask_b32_e32 v33, 4, v33, vcc_lo
	v_cmp_lt_u32_e32 vcc_lo, 0x3bdfffff, v32
	s_delay_alu instid0(VALU_DEP_2) | instskip(SKIP_1) | instid1(VALU_DEP_2)
	v_cndmask_b32_e32 v33, 3, v33, vcc_lo
	v_cmp_lt_u32_e32 vcc_lo, 0x3ba00000, v32
	v_cndmask_b32_e32 v33, 2, v33, vcc_lo
	v_cmp_lt_u32_e32 vcc_lo, 0x3b3fffff, v32
	s_delay_alu instid0(VALU_DEP_2) | instskip(SKIP_1) | instid1(VALU_DEP_2)
	v_cndmask_b32_e32 v33, 1, v33, vcc_lo
	v_cmp_lt_u32_e32 vcc_lo, 0x3a800000, v32
	v_cndmask_b32_e32 v32, 0, v33, vcc_lo
	v_cmp_o_f32_e32 vcc_lo, v15, v15
	s_delay_alu instid0(VALU_DEP_2) | instskip(SKIP_1) | instid1(VALU_DEP_1)
	v_cndmask_b32_e32 v35, 0x7f, v32, vcc_lo
	.loc	1 68 56                         ; persistent_matmul.py:68:56
	v_add_co_u32 v32, vcc_lo, v55, v46
	v_add_co_ci_u32_e64 v33, null, v56, v47, vcc_lo
	s_delay_alu instid0(VALU_DEP_3) | instskip(SKIP_3) | instid1(SALU_CYCLE_1)
	.loc	1 71 31                         ; persistent_matmul.py:71:31
	v_or_b32_e32 v34, v35, v34
	.loc	1 74 25                         ; persistent_matmul.py:74:25
	global_store_b8 v[32:33], v34, off
	s_or_b32 exec_lo, exec_lo, s0
	.loc	1 69 43                         ; persistent_matmul.py:69:43
	s_and_b32 s1, s10, s7
	.loc	1 74 25                         ; persistent_matmul.py:74:25
	s_and_saveexec_b32 s0, s1
	s_cbranch_execz .LBB0_177
.LBB0_192:                              ;   in Loop: Header=BB0_69 Depth=1
	.loc	1 71 31                         ; persistent_matmul.py:71:31
	v_and_b32_e32 v32, 0x7fffffff, v0
	v_lshrrev_b32_e32 v34, 24, v0
	s_delay_alu instid0(VALU_DEP_2) | instskip(SKIP_1) | instid1(VALU_DEP_3)
	v_bfe_u32 v33, v32, 20, 1
	v_cmp_gt_u32_e32 vcc_lo, 0x43e80000, v32
	v_and_b32_e32 v34, 0x80, v34
	s_delay_alu instid0(VALU_DEP_3) | instskip(NEXT) | instid1(VALU_DEP_1)
	v_add3_u32 v33, v32, v33, 0x7ffff
	v_and_b32_e32 v33, 0xfff00000, v33
	s_delay_alu instid0(VALU_DEP_1) | instskip(NEXT) | instid1(VALU_DEP_1)
	v_max_u32_e32 v33, 0x3c800000, v33
	v_add_nc_u32_e32 v33, 0x4000000, v33
	s_delay_alu instid0(VALU_DEP_1) | instskip(NEXT) | instid1(VALU_DEP_1)
	v_lshrrev_b32_e32 v33, 20, v33
	v_cndmask_b32_e32 v33, 0x7e, v33, vcc_lo
	v_cmp_lt_u32_e32 vcc_lo, 0x3c6fffff, v32
	s_delay_alu instid0(VALU_DEP_2) | instskip(SKIP_1) | instid1(VALU_DEP_2)
	v_cndmask_b32_e32 v33, 7, v33, vcc_lo
	v_cmp_lt_u32_e32 vcc_lo, 0x3c500000, v32
	v_cndmask_b32_e32 v33, 6, v33, vcc_lo
	v_cmp_lt_u32_e32 vcc_lo, 0x3c2fffff, v32
	s_delay_alu instid0(VALU_DEP_2) | instskip(SKIP_1) | instid1(VALU_DEP_2)
	v_cndmask_b32_e32 v33, 5, v33, vcc_lo
	v_cmp_lt_u32_e32 vcc_lo, 0x3c100000, v32
	;; [unrolled: 5-line block ×4, first 2 shown]
	v_cndmask_b32_e32 v32, 0, v33, vcc_lo
	v_cmp_o_f32_e32 vcc_lo, v0, v0
	s_delay_alu instid0(VALU_DEP_2) | instskip(SKIP_1) | instid1(VALU_DEP_1)
	v_cndmask_b32_e32 v35, 0x7f, v32, vcc_lo
	.loc	1 68 56                         ; persistent_matmul.py:68:56
	v_add_co_u32 v32, vcc_lo, v55, v48
	v_add_co_ci_u32_e64 v33, null, v56, v49, vcc_lo
	s_delay_alu instid0(VALU_DEP_3) | instskip(SKIP_3) | instid1(SALU_CYCLE_1)
	.loc	1 71 31                         ; persistent_matmul.py:71:31
	v_or_b32_e32 v34, v35, v34
	.loc	1 74 25                         ; persistent_matmul.py:74:25
	global_store_b8 v[32:33], v34, off
	s_or_b32 exec_lo, exec_lo, s0
	.loc	1 69 43                         ; persistent_matmul.py:69:43
	s_and_b32 s1, s10, s8
	.loc	1 74 25                         ; persistent_matmul.py:74:25
	s_and_saveexec_b32 s0, s1
	s_cbranch_execz .LBB0_178
.LBB0_193:                              ;   in Loop: Header=BB0_69 Depth=1
	.loc	1 71 31                         ; persistent_matmul.py:71:31
	v_and_b32_e32 v32, 0x7fffffff, v1
	v_lshrrev_b32_e32 v34, 24, v1
	s_delay_alu instid0(VALU_DEP_2) | instskip(SKIP_1) | instid1(VALU_DEP_3)
	v_bfe_u32 v33, v32, 20, 1
	v_cmp_gt_u32_e32 vcc_lo, 0x43e80000, v32
	v_and_b32_e32 v34, 0x80, v34
	s_delay_alu instid0(VALU_DEP_3) | instskip(NEXT) | instid1(VALU_DEP_1)
	v_add3_u32 v33, v32, v33, 0x7ffff
	v_and_b32_e32 v33, 0xfff00000, v33
	s_delay_alu instid0(VALU_DEP_1) | instskip(NEXT) | instid1(VALU_DEP_1)
	v_max_u32_e32 v33, 0x3c800000, v33
	v_add_nc_u32_e32 v33, 0x4000000, v33
	s_delay_alu instid0(VALU_DEP_1) | instskip(NEXT) | instid1(VALU_DEP_1)
	v_lshrrev_b32_e32 v33, 20, v33
	v_cndmask_b32_e32 v33, 0x7e, v33, vcc_lo
	v_cmp_lt_u32_e32 vcc_lo, 0x3c6fffff, v32
	s_delay_alu instid0(VALU_DEP_2) | instskip(SKIP_1) | instid1(VALU_DEP_2)
	v_cndmask_b32_e32 v33, 7, v33, vcc_lo
	v_cmp_lt_u32_e32 vcc_lo, 0x3c500000, v32
	v_cndmask_b32_e32 v33, 6, v33, vcc_lo
	v_cmp_lt_u32_e32 vcc_lo, 0x3c2fffff, v32
	s_delay_alu instid0(VALU_DEP_2) | instskip(SKIP_1) | instid1(VALU_DEP_2)
	v_cndmask_b32_e32 v33, 5, v33, vcc_lo
	v_cmp_lt_u32_e32 vcc_lo, 0x3c100000, v32
	;; [unrolled: 5-line block ×4, first 2 shown]
	v_cndmask_b32_e32 v32, 0, v33, vcc_lo
	v_cmp_o_f32_e32 vcc_lo, v1, v1
	s_delay_alu instid0(VALU_DEP_2) | instskip(SKIP_1) | instid1(VALU_DEP_1)
	v_cndmask_b32_e32 v35, 0x7f, v32, vcc_lo
	.loc	1 68 56                         ; persistent_matmul.py:68:56
	v_add_co_u32 v32, vcc_lo, v55, v50
	v_add_co_ci_u32_e64 v33, null, v56, v51, vcc_lo
	s_delay_alu instid0(VALU_DEP_3) | instskip(SKIP_3) | instid1(SALU_CYCLE_1)
	.loc	1 71 31                         ; persistent_matmul.py:71:31
	v_or_b32_e32 v34, v35, v34
	.loc	1 74 25                         ; persistent_matmul.py:74:25
	global_store_b8 v[32:33], v34, off
	s_or_b32 exec_lo, exec_lo, s0
	.loc	1 69 43                         ; persistent_matmul.py:69:43
	s_and_b32 s1, s10, s9
	.loc	1 74 25                         ; persistent_matmul.py:74:25
	s_and_saveexec_b32 s0, s1
	s_cbranch_execz .LBB0_179
.LBB0_194:                              ;   in Loop: Header=BB0_69 Depth=1
	.loc	1 71 31                         ; persistent_matmul.py:71:31
	v_and_b32_e32 v32, 0x7fffffff, v2
	v_lshrrev_b32_e32 v34, 24, v2
	s_delay_alu instid0(VALU_DEP_2) | instskip(SKIP_1) | instid1(VALU_DEP_3)
	v_bfe_u32 v33, v32, 20, 1
	v_cmp_gt_u32_e32 vcc_lo, 0x43e80000, v32
	v_and_b32_e32 v34, 0x80, v34
	s_delay_alu instid0(VALU_DEP_3) | instskip(NEXT) | instid1(VALU_DEP_1)
	v_add3_u32 v33, v32, v33, 0x7ffff
	v_and_b32_e32 v33, 0xfff00000, v33
	s_delay_alu instid0(VALU_DEP_1) | instskip(NEXT) | instid1(VALU_DEP_1)
	v_max_u32_e32 v33, 0x3c800000, v33
	v_add_nc_u32_e32 v33, 0x4000000, v33
	s_delay_alu instid0(VALU_DEP_1) | instskip(NEXT) | instid1(VALU_DEP_1)
	v_lshrrev_b32_e32 v33, 20, v33
	v_cndmask_b32_e32 v33, 0x7e, v33, vcc_lo
	v_cmp_lt_u32_e32 vcc_lo, 0x3c6fffff, v32
	s_delay_alu instid0(VALU_DEP_2) | instskip(SKIP_1) | instid1(VALU_DEP_2)
	v_cndmask_b32_e32 v33, 7, v33, vcc_lo
	v_cmp_lt_u32_e32 vcc_lo, 0x3c500000, v32
	v_cndmask_b32_e32 v33, 6, v33, vcc_lo
	v_cmp_lt_u32_e32 vcc_lo, 0x3c2fffff, v32
	s_delay_alu instid0(VALU_DEP_2) | instskip(SKIP_1) | instid1(VALU_DEP_2)
	v_cndmask_b32_e32 v33, 5, v33, vcc_lo
	v_cmp_lt_u32_e32 vcc_lo, 0x3c100000, v32
	;; [unrolled: 5-line block ×4, first 2 shown]
	v_cndmask_b32_e32 v32, 0, v33, vcc_lo
	v_cmp_o_f32_e32 vcc_lo, v2, v2
	s_delay_alu instid0(VALU_DEP_2) | instskip(SKIP_1) | instid1(VALU_DEP_1)
	v_cndmask_b32_e32 v35, 0x7f, v32, vcc_lo
	.loc	1 68 56                         ; persistent_matmul.py:68:56
	v_add_co_u32 v32, vcc_lo, v55, v52
	v_add_co_ci_u32_e64 v33, null, v56, v53, vcc_lo
	s_delay_alu instid0(VALU_DEP_3) | instskip(SKIP_3) | instid1(SALU_CYCLE_1)
	.loc	1 71 31                         ; persistent_matmul.py:71:31
	v_or_b32_e32 v34, v35, v34
	.loc	1 74 25                         ; persistent_matmul.py:74:25
	global_store_b8 v[32:33], v34, off
	s_or_b32 exec_lo, exec_lo, s0
	.loc	1 69 43                         ; persistent_matmul.py:69:43
	s_and_b32 s1, s10, s11
	.loc	1 74 25                         ; persistent_matmul.py:74:25
	s_and_saveexec_b32 s0, s1
	s_cbranch_execz .LBB0_180
.LBB0_195:                              ;   in Loop: Header=BB0_69 Depth=1
	.loc	1 71 31                         ; persistent_matmul.py:71:31
	v_and_b32_e32 v32, 0x7fffffff, v3
	v_lshrrev_b32_e32 v34, 24, v3
	s_delay_alu instid0(VALU_DEP_2) | instskip(SKIP_1) | instid1(VALU_DEP_3)
	v_bfe_u32 v33, v32, 20, 1
	v_cmp_gt_u32_e32 vcc_lo, 0x43e80000, v32
	v_and_b32_e32 v34, 0x80, v34
	s_delay_alu instid0(VALU_DEP_3) | instskip(NEXT) | instid1(VALU_DEP_1)
	v_add3_u32 v33, v32, v33, 0x7ffff
	v_and_b32_e32 v33, 0xfff00000, v33
	s_delay_alu instid0(VALU_DEP_1) | instskip(NEXT) | instid1(VALU_DEP_1)
	v_max_u32_e32 v33, 0x3c800000, v33
	v_add_nc_u32_e32 v33, 0x4000000, v33
	s_delay_alu instid0(VALU_DEP_1) | instskip(NEXT) | instid1(VALU_DEP_1)
	v_lshrrev_b32_e32 v33, 20, v33
	v_cndmask_b32_e32 v33, 0x7e, v33, vcc_lo
	v_cmp_lt_u32_e32 vcc_lo, 0x3c6fffff, v32
	s_delay_alu instid0(VALU_DEP_2) | instskip(SKIP_1) | instid1(VALU_DEP_2)
	v_cndmask_b32_e32 v33, 7, v33, vcc_lo
	v_cmp_lt_u32_e32 vcc_lo, 0x3c500000, v32
	v_cndmask_b32_e32 v33, 6, v33, vcc_lo
	v_cmp_lt_u32_e32 vcc_lo, 0x3c2fffff, v32
	s_delay_alu instid0(VALU_DEP_2) | instskip(SKIP_1) | instid1(VALU_DEP_2)
	v_cndmask_b32_e32 v33, 5, v33, vcc_lo
	v_cmp_lt_u32_e32 vcc_lo, 0x3c100000, v32
	;; [unrolled: 5-line block ×4, first 2 shown]
	v_cndmask_b32_e32 v32, 0, v33, vcc_lo
	v_cmp_o_f32_e32 vcc_lo, v3, v3
	s_delay_alu instid0(VALU_DEP_2) | instskip(SKIP_1) | instid1(VALU_DEP_1)
	v_cndmask_b32_e32 v35, 0x7f, v32, vcc_lo
	.loc	1 68 56                         ; persistent_matmul.py:68:56
	v_add_co_u32 v32, vcc_lo, v55, v54
	v_add_co_ci_u32_e64 v33, null, v56, v57, vcc_lo
	s_delay_alu instid0(VALU_DEP_3) | instskip(SKIP_3) | instid1(SALU_CYCLE_1)
	.loc	1 71 31                         ; persistent_matmul.py:71:31
	v_or_b32_e32 v34, v35, v34
	.loc	1 74 25                         ; persistent_matmul.py:74:25
	global_store_b8 v[32:33], v34, off
	s_or_b32 exec_lo, exec_lo, s0
	.loc	1 69 43                         ; persistent_matmul.py:69:43
	s_and_b32 s1, s10, s12
	.loc	1 74 25                         ; persistent_matmul.py:74:25
	s_and_saveexec_b32 s0, s1
	s_cbranch_execz .LBB0_181
.LBB0_196:                              ;   in Loop: Header=BB0_69 Depth=1
	.loc	1 71 31                         ; persistent_matmul.py:71:31
	v_and_b32_e32 v32, 0x7fffffff, v4
	v_lshrrev_b32_e32 v34, 24, v4
	s_delay_alu instid0(VALU_DEP_2) | instskip(SKIP_1) | instid1(VALU_DEP_3)
	v_bfe_u32 v33, v32, 20, 1
	v_cmp_gt_u32_e32 vcc_lo, 0x43e80000, v32
	v_and_b32_e32 v34, 0x80, v34
	s_delay_alu instid0(VALU_DEP_3) | instskip(NEXT) | instid1(VALU_DEP_1)
	v_add3_u32 v33, v32, v33, 0x7ffff
	v_and_b32_e32 v33, 0xfff00000, v33
	s_delay_alu instid0(VALU_DEP_1) | instskip(NEXT) | instid1(VALU_DEP_1)
	v_max_u32_e32 v33, 0x3c800000, v33
	v_add_nc_u32_e32 v33, 0x4000000, v33
	s_delay_alu instid0(VALU_DEP_1) | instskip(NEXT) | instid1(VALU_DEP_1)
	v_lshrrev_b32_e32 v33, 20, v33
	v_cndmask_b32_e32 v33, 0x7e, v33, vcc_lo
	v_cmp_lt_u32_e32 vcc_lo, 0x3c6fffff, v32
	s_delay_alu instid0(VALU_DEP_2) | instskip(SKIP_1) | instid1(VALU_DEP_2)
	v_cndmask_b32_e32 v33, 7, v33, vcc_lo
	v_cmp_lt_u32_e32 vcc_lo, 0x3c500000, v32
	v_cndmask_b32_e32 v33, 6, v33, vcc_lo
	v_cmp_lt_u32_e32 vcc_lo, 0x3c2fffff, v32
	s_delay_alu instid0(VALU_DEP_2) | instskip(SKIP_1) | instid1(VALU_DEP_2)
	v_cndmask_b32_e32 v33, 5, v33, vcc_lo
	v_cmp_lt_u32_e32 vcc_lo, 0x3c100000, v32
	;; [unrolled: 5-line block ×4, first 2 shown]
	v_cndmask_b32_e32 v32, 0, v33, vcc_lo
	v_cmp_o_f32_e32 vcc_lo, v4, v4
	s_delay_alu instid0(VALU_DEP_2) | instskip(SKIP_1) | instid1(VALU_DEP_1)
	v_cndmask_b32_e32 v35, 0x7f, v32, vcc_lo
	.loc	1 68 56                         ; persistent_matmul.py:68:56
	v_add_co_u32 v32, vcc_lo, v55, v58
	v_add_co_ci_u32_e64 v33, null, v56, v59, vcc_lo
	s_delay_alu instid0(VALU_DEP_3) | instskip(SKIP_3) | instid1(SALU_CYCLE_1)
	.loc	1 71 31                         ; persistent_matmul.py:71:31
	v_or_b32_e32 v34, v35, v34
	.loc	1 74 25                         ; persistent_matmul.py:74:25
	global_store_b8 v[32:33], v34, off
	s_or_b32 exec_lo, exec_lo, s0
	.loc	1 69 43                         ; persistent_matmul.py:69:43
	s_and_b32 s1, s10, s13
	.loc	1 74 25                         ; persistent_matmul.py:74:25
	s_and_saveexec_b32 s0, s1
	s_cbranch_execz .LBB0_182
.LBB0_197:                              ;   in Loop: Header=BB0_69 Depth=1
	.loc	1 71 31                         ; persistent_matmul.py:71:31
	v_and_b32_e32 v32, 0x7fffffff, v5
	v_lshrrev_b32_e32 v34, 24, v5
	s_delay_alu instid0(VALU_DEP_2) | instskip(SKIP_1) | instid1(VALU_DEP_3)
	v_bfe_u32 v33, v32, 20, 1
	v_cmp_gt_u32_e32 vcc_lo, 0x43e80000, v32
	v_and_b32_e32 v34, 0x80, v34
	s_delay_alu instid0(VALU_DEP_3) | instskip(NEXT) | instid1(VALU_DEP_1)
	v_add3_u32 v33, v32, v33, 0x7ffff
	v_and_b32_e32 v33, 0xfff00000, v33
	s_delay_alu instid0(VALU_DEP_1) | instskip(NEXT) | instid1(VALU_DEP_1)
	v_max_u32_e32 v33, 0x3c800000, v33
	v_add_nc_u32_e32 v33, 0x4000000, v33
	s_delay_alu instid0(VALU_DEP_1) | instskip(NEXT) | instid1(VALU_DEP_1)
	v_lshrrev_b32_e32 v33, 20, v33
	v_cndmask_b32_e32 v33, 0x7e, v33, vcc_lo
	v_cmp_lt_u32_e32 vcc_lo, 0x3c6fffff, v32
	s_delay_alu instid0(VALU_DEP_2) | instskip(SKIP_1) | instid1(VALU_DEP_2)
	v_cndmask_b32_e32 v33, 7, v33, vcc_lo
	v_cmp_lt_u32_e32 vcc_lo, 0x3c500000, v32
	v_cndmask_b32_e32 v33, 6, v33, vcc_lo
	v_cmp_lt_u32_e32 vcc_lo, 0x3c2fffff, v32
	s_delay_alu instid0(VALU_DEP_2) | instskip(SKIP_1) | instid1(VALU_DEP_2)
	v_cndmask_b32_e32 v33, 5, v33, vcc_lo
	v_cmp_lt_u32_e32 vcc_lo, 0x3c100000, v32
	;; [unrolled: 5-line block ×4, first 2 shown]
	v_cndmask_b32_e32 v32, 0, v33, vcc_lo
	v_cmp_o_f32_e32 vcc_lo, v5, v5
	s_delay_alu instid0(VALU_DEP_2) | instskip(SKIP_1) | instid1(VALU_DEP_1)
	v_cndmask_b32_e32 v35, 0x7f, v32, vcc_lo
	.loc	1 68 56                         ; persistent_matmul.py:68:56
	v_add_co_u32 v32, vcc_lo, v55, v60
	v_add_co_ci_u32_e64 v33, null, v56, v61, vcc_lo
	s_delay_alu instid0(VALU_DEP_3) | instskip(SKIP_3) | instid1(SALU_CYCLE_1)
	.loc	1 71 31                         ; persistent_matmul.py:71:31
	v_or_b32_e32 v34, v35, v34
	.loc	1 74 25                         ; persistent_matmul.py:74:25
	global_store_b8 v[32:33], v34, off
	s_or_b32 exec_lo, exec_lo, s0
	.loc	1 69 43                         ; persistent_matmul.py:69:43
	s_and_b32 s1, s10, s14
	.loc	1 74 25                         ; persistent_matmul.py:74:25
	s_and_saveexec_b32 s0, s1
	s_cbranch_execz .LBB0_183
.LBB0_198:                              ;   in Loop: Header=BB0_69 Depth=1
	.loc	1 71 31                         ; persistent_matmul.py:71:31
	v_and_b32_e32 v32, 0x7fffffff, v6
	v_lshrrev_b32_e32 v34, 24, v6
	s_delay_alu instid0(VALU_DEP_2) | instskip(SKIP_1) | instid1(VALU_DEP_3)
	v_bfe_u32 v33, v32, 20, 1
	v_cmp_gt_u32_e32 vcc_lo, 0x43e80000, v32
	v_and_b32_e32 v34, 0x80, v34
	s_delay_alu instid0(VALU_DEP_3) | instskip(NEXT) | instid1(VALU_DEP_1)
	v_add3_u32 v33, v32, v33, 0x7ffff
	v_and_b32_e32 v33, 0xfff00000, v33
	s_delay_alu instid0(VALU_DEP_1) | instskip(NEXT) | instid1(VALU_DEP_1)
	v_max_u32_e32 v33, 0x3c800000, v33
	v_add_nc_u32_e32 v33, 0x4000000, v33
	s_delay_alu instid0(VALU_DEP_1) | instskip(NEXT) | instid1(VALU_DEP_1)
	v_lshrrev_b32_e32 v33, 20, v33
	v_cndmask_b32_e32 v33, 0x7e, v33, vcc_lo
	v_cmp_lt_u32_e32 vcc_lo, 0x3c6fffff, v32
	s_delay_alu instid0(VALU_DEP_2) | instskip(SKIP_1) | instid1(VALU_DEP_2)
	v_cndmask_b32_e32 v33, 7, v33, vcc_lo
	v_cmp_lt_u32_e32 vcc_lo, 0x3c500000, v32
	v_cndmask_b32_e32 v33, 6, v33, vcc_lo
	v_cmp_lt_u32_e32 vcc_lo, 0x3c2fffff, v32
	s_delay_alu instid0(VALU_DEP_2) | instskip(SKIP_1) | instid1(VALU_DEP_2)
	v_cndmask_b32_e32 v33, 5, v33, vcc_lo
	v_cmp_lt_u32_e32 vcc_lo, 0x3c100000, v32
	;; [unrolled: 5-line block ×4, first 2 shown]
	v_cndmask_b32_e32 v32, 0, v33, vcc_lo
	v_cmp_o_f32_e32 vcc_lo, v6, v6
	s_delay_alu instid0(VALU_DEP_2) | instskip(SKIP_1) | instid1(VALU_DEP_1)
	v_cndmask_b32_e32 v35, 0x7f, v32, vcc_lo
	.loc	1 68 56                         ; persistent_matmul.py:68:56
	v_add_co_u32 v32, vcc_lo, v55, v62
	v_add_co_ci_u32_e64 v33, null, v56, v63, vcc_lo
	s_delay_alu instid0(VALU_DEP_3) | instskip(SKIP_3) | instid1(SALU_CYCLE_1)
	.loc	1 71 31                         ; persistent_matmul.py:71:31
	v_or_b32_e32 v34, v35, v34
	.loc	1 74 25                         ; persistent_matmul.py:74:25
	global_store_b8 v[32:33], v34, off
	s_or_b32 exec_lo, exec_lo, s0
	.loc	1 69 43                         ; persistent_matmul.py:69:43
	s_and_b32 s1, s10, s16
	.loc	1 74 25                         ; persistent_matmul.py:74:25
	s_and_saveexec_b32 s0, s1
	s_cbranch_execz .LBB0_67
.LBB0_199:                              ;   in Loop: Header=BB0_69 Depth=1
	.loc	1 71 31                         ; persistent_matmul.py:71:31
	v_and_b32_e32 v32, 0x7fffffff, v7
	v_lshrrev_b32_e32 v34, 24, v7
	s_delay_alu instid0(VALU_DEP_2) | instskip(SKIP_1) | instid1(VALU_DEP_3)
	v_bfe_u32 v33, v32, 20, 1
	v_cmp_gt_u32_e32 vcc_lo, 0x43e80000, v32
	v_and_b32_e32 v34, 0x80, v34
	s_delay_alu instid0(VALU_DEP_3) | instskip(NEXT) | instid1(VALU_DEP_1)
	v_add3_u32 v33, v32, v33, 0x7ffff
	v_and_b32_e32 v33, 0xfff00000, v33
	s_delay_alu instid0(VALU_DEP_1) | instskip(NEXT) | instid1(VALU_DEP_1)
	v_max_u32_e32 v33, 0x3c800000, v33
	v_add_nc_u32_e32 v33, 0x4000000, v33
	s_delay_alu instid0(VALU_DEP_1) | instskip(NEXT) | instid1(VALU_DEP_1)
	v_lshrrev_b32_e32 v33, 20, v33
	v_cndmask_b32_e32 v33, 0x7e, v33, vcc_lo
	v_cmp_lt_u32_e32 vcc_lo, 0x3c6fffff, v32
	s_delay_alu instid0(VALU_DEP_2) | instskip(SKIP_1) | instid1(VALU_DEP_2)
	v_cndmask_b32_e32 v33, 7, v33, vcc_lo
	v_cmp_lt_u32_e32 vcc_lo, 0x3c500000, v32
	v_cndmask_b32_e32 v33, 6, v33, vcc_lo
	v_cmp_lt_u32_e32 vcc_lo, 0x3c2fffff, v32
	s_delay_alu instid0(VALU_DEP_2) | instskip(SKIP_1) | instid1(VALU_DEP_2)
	v_cndmask_b32_e32 v33, 5, v33, vcc_lo
	v_cmp_lt_u32_e32 vcc_lo, 0x3c100000, v32
	;; [unrolled: 5-line block ×4, first 2 shown]
	v_cndmask_b32_e32 v32, 0, v33, vcc_lo
	v_cmp_o_f32_e32 vcc_lo, v7, v7
	s_delay_alu instid0(VALU_DEP_2) | instskip(SKIP_1) | instid1(VALU_DEP_1)
	v_cndmask_b32_e32 v35, 0x7f, v32, vcc_lo
	.loc	1 68 56                         ; persistent_matmul.py:68:56
	v_add_co_u32 v32, vcc_lo, v55, v180
	v_add_co_ci_u32_e64 v33, null, v56, v181, vcc_lo
	s_delay_alu instid0(VALU_DEP_3)
	.loc	1 71 31                         ; persistent_matmul.py:71:31
	v_or_b32_e32 v34, v35, v34
	.loc	1 74 25                         ; persistent_matmul.py:74:25
	global_store_b8 v[32:33], v34, off
	s_branch .LBB0_67
.LBB0_200:                              ; %._crit_edge.loopexit
	.loc	1 64 21                         ; persistent_matmul.py:64:21
	s_add_i32 s0, s44, 0x130
	s_branch .LBB0_202
.LBB0_201:
	.loc	1 0 21 is_stmt 0                ; persistent_matmul.py:0:21
	v_mov_b32_e32 v7, 0
	s_mov_b32 s0, s15
	s_delay_alu instid0(VALU_DEP_1)
	v_mov_b32_e32 v6, v7
	v_mov_b32_e32 v5, v7
	;; [unrolled: 1-line block ×31, first 2 shown]
.LBB0_202:                              ; %._crit_edge
	.loc	1 62 39 is_stmt 1               ; persistent_matmul.py:62:39
	s_and_not1_b32 vcc_lo, exec_lo, s35
	.loc	1 60 24                         ; persistent_matmul.py:60:24
	s_waitcnt lgkmcnt(0)
	s_barrier
	buffer_gl0_inv
	.loc	1 62 39                         ; persistent_matmul.py:62:39
	s_cbranch_vccnz .LBB0_204
; %bb.203:
	.loc	1 61 24                         ; persistent_matmul.py:61:24
	v_lshl_add_u32 v64, v83, 1, v136
	.loc	1 60 24                         ; persistent_matmul.py:60:24
	v_and_b32_e32 v83, 48, v129
	.loc	1 61 24                         ; persistent_matmul.py:61:24
	ds_load_u16 v36, v64 offset:5120
	ds_load_u16 v43, v64 offset:4928
	;; [unrolled: 1-line block ×18, first 2 shown]
	.loc	1 60 24                         ; persistent_matmul.py:60:24
	v_or3_b32 v83, v127, v83, v128
	.loc	1 61 24                         ; persistent_matmul.py:61:24
	s_waitcnt lgkmcnt(17)
	ds_load_u16_d16_hi v36, v64 offset:5248
	ds_load_u16 v35, v64 offset:4864
	ds_load_u16 v42, v64 offset:4672
	;; [unrolled: 1-line block ×8, first 2 shown]
	s_waitcnt lgkmcnt(19)
	ds_load_u16_d16_hi v59, v64 offset:7040
	ds_load_u16_d16_hi v50, v64 offset:6848
	;; [unrolled: 1-line block ×3, first 2 shown]
	ds_load_u16 v63, v64 offset:7936
	ds_load_u16 v62, v64 offset:7680
	s_waitcnt lgkmcnt(20)
	ds_load_u16_d16_hi v60, v64 offset:7296
	ds_load_u16_d16_hi v51, v64 offset:7104
	;; [unrolled: 1-line block ×4, first 2 shown]
	ds_load_u16 v34, v64 offset:4608
	ds_load_u16 v32, v64 offset:4096
	s_waitcnt lgkmcnt(20)
	ds_load_u16_d16_hi v61, v64 offset:7552
	ds_load_u16_d16_hi v52, v64 offset:7360
	.loc	1 60 24                         ; persistent_matmul.py:60:24
	v_xad_u32 v84, v83, 16, 0
	v_add_nc_u32_e32 v91, 0, v83
	v_xad_u32 v107, v83, 48, 0
	v_xad_u32 v108, v83, 32, 0
	.loc	1 61 24                         ; persistent_matmul.py:61:24
	s_waitcnt lgkmcnt(20)
	ds_load_u16_d16_hi v35, v64 offset:4992
	ds_load_u16 v58, v64 offset:6656
	ds_load_u16 v57, v64 offset:6400
	ds_load_u16_d16_hi v38, v64 offset:5760
	ds_load_u16_d16_hi v45, v64 offset:5568
	;; [unrolled: 1-line block ×3, first 2 shown]
	s_waitcnt lgkmcnt(19)
	ds_load_u16_d16_hi v33, v64 offset:4480
	ds_load_u16_d16_hi v40, v64 offset:4288
	;; [unrolled: 1-line block ×4, first 2 shown]
	s_waitcnt lgkmcnt(19)
	ds_load_u16_d16_hi v63, v64 offset:8064
	s_waitcnt lgkmcnt(19)
	ds_load_u16_d16_hi v62, v64 offset:7808
	ds_load_u16_d16_hi v56, v64 offset:6272
	;; [unrolled: 1-line block ×7, first 2 shown]
	s_waitcnt lgkmcnt(21)
	ds_load_u16_d16_hi v34, v64 offset:4736
	s_waitcnt lgkmcnt(21)
	ds_load_u16_d16_hi v32, v64 offset:4224
	.loc	1 60 24                         ; persistent_matmul.py:60:24
	ds_load_b128 v[87:90], v84 offset:2048
	ds_load_b128 v[95:98], v84
	ds_load_b128 v[83:86], v91 offset:2048
	ds_load_b128 v[91:94], v91
	.loc	1 61 24                         ; persistent_matmul.py:61:24
	ds_load_u16_d16_hi v49, v64 offset:6592
	ds_load_u16_d16_hi v48, v64 offset:6336
	s_waitcnt lgkmcnt(24)
	ds_load_u16_d16_hi v58, v64 offset:6784
	s_waitcnt lgkmcnt(24)
	ds_load_u16_d16_hi v57, v64 offset:6528
	.loc	1 60 24                         ; persistent_matmul.py:60:24
	ds_load_b128 v[99:102], v108
	ds_load_b128 v[103:106], v107
	ds_load_b128 v[111:114], v107 offset:2048
	ds_load_b128 v[107:110], v108 offset:2048
	.loc	1 62 39                         ; persistent_matmul.py:62:39
	s_waitcnt lgkmcnt(8)
	v_wmma_f32_16x16x16_f16 v[16:23], v[40:47], v[91:98], v[16:23]
	v_wmma_f32_16x16x16_f16 v[0:7], v[40:47], v[83:90], v[0:7]
	;; [unrolled: 1-line block ×4, first 2 shown]
	s_waitcnt lgkmcnt(2)
	v_wmma_f32_16x16x16_f16 v[16:23], v[48:55], v[99:106], v[16:23]
	s_waitcnt lgkmcnt(0)
	v_wmma_f32_16x16x16_f16 v[0:7], v[48:55], v[107:114], v[0:7]
	v_wmma_f32_16x16x16_f16 v[24:31], v[56:63], v[99:106], v[24:31]
	;; [unrolled: 1-line block ×3, first 2 shown]
.LBB0_204:
	.loc	1 43 59                         ; persistent_matmul.py:43:59
	s_cmp_lg_u32 s41, s39
	s_cselect_b32 s1, -1, 0
	s_xor_b32 s2, s35, -1
	s_delay_alu instid0(SALU_CYCLE_1) | instskip(NEXT) | instid1(SALU_CYCLE_1)
	s_or_b32 s1, s2, s1
	s_and_b32 vcc_lo, exec_lo, s1
	s_cbranch_vccnz .LBB0_255
; %bb.205:
.Ltmp47:
	.loc	1 10 26                         ; persistent_matmul.py:10:26 @[ persistent_matmul.py:65:90 ]
	s_abs_i32 s1, s0
	s_ashr_i32 s3, s0, 31
	s_mul_hi_u32 s2, s1, s37
	s_xor_b32 s5, s3, s36
	s_mul_i32 s4, s2, s34
	s_add_i32 s6, s2, 1
	s_sub_i32 s4, s1, s4
	s_delay_alu instid0(SALU_CYCLE_1)
	s_sub_i32 s7, s4, s34
	s_cmp_ge_u32 s4, s34
	s_cselect_b32 s2, s6, s2
	s_cselect_b32 s4, s7, s4
	s_add_i32 s6, s2, 1
	s_cmp_ge_u32 s4, s34
	s_cselect_b32 s2, s6, s2
	s_delay_alu instid0(SALU_CYCLE_1) | instskip(NEXT) | instid1(SALU_CYCLE_1)
	s_xor_b32 s2, s2, s5
	s_sub_i32 s2, s2, s5
	s_delay_alu instid0(SALU_CYCLE_1) | instskip(SKIP_2) | instid1(SALU_CYCLE_1)
	.loc	1 11 29                         ; persistent_matmul.py:11:29 @[ persistent_matmul.py:65:90 ]
	s_lshl_b32 s4, s2, 3
	.loc	1 14 23                         ; persistent_matmul.py:14:23 @[ persistent_matmul.py:65:90 ]
	s_mul_i32 s2, s2, s33
	.loc	1 12 35                         ; persistent_matmul.py:12:35 @[ persistent_matmul.py:65:90 ]
	s_sub_i32 s5, s30, s4
	.loc	1 12 48 is_stmt 0               ; persistent_matmul.py:12:48 @[ persistent_matmul.py:65:90 ]
	s_min_i32 s5, s5, 8
	s_delay_alu instid0(SALU_CYCLE_1) | instskip(NEXT) | instid1(SALU_CYCLE_1)
	.loc	1 13 37 is_stmt 1               ; persistent_matmul.py:13:37 @[ persistent_matmul.py:65:90 ]
	s_abs_i32 s6, s5
	v_cvt_f32_u32_e32 v32, s6
	s_sub_i32 s8, 0, s6
	s_delay_alu instid0(VALU_DEP_1) | instskip(SKIP_2) | instid1(VALU_DEP_1)
	v_rcp_iflag_f32_e32 v32, v32
	s_waitcnt_depctr depctr_va_vdst(0)
	v_mul_f32_e32 v32, 0x4f7ffffe, v32
	v_cvt_u32_f32_e32 v32, v32
	s_delay_alu instid0(VALU_DEP_1) | instskip(SKIP_1) | instid1(SALU_CYCLE_1)
	v_readfirstlane_b32 s7, v32
	s_mul_i32 s8, s8, s7
	s_mul_hi_u32 s8, s7, s8
	s_delay_alu instid0(SALU_CYCLE_1) | instskip(NEXT) | instid1(SALU_CYCLE_1)
	s_add_i32 s7, s7, s8
	s_mul_hi_u32 s8, s1, s7
	s_delay_alu instid0(SALU_CYCLE_1) | instskip(NEXT) | instid1(SALU_CYCLE_1)
	s_mul_i32 s8, s8, s6
	s_sub_i32 s1, s1, s8
	s_delay_alu instid0(SALU_CYCLE_1) | instskip(SKIP_2) | instid1(SALU_CYCLE_1)
	s_sub_i32 s8, s1, s6
	s_cmp_ge_u32 s1, s6
	s_cselect_b32 s1, s8, s1
	s_sub_i32 s8, s1, s6
	s_cmp_ge_u32 s1, s6
	s_cselect_b32 s1, s8, s1
	.loc	1 14 23                         ; persistent_matmul.py:14:23 @[ persistent_matmul.py:65:90 ]
	s_sub_i32 s0, s0, s2
	.loc	1 13 37                         ; persistent_matmul.py:13:37 @[ persistent_matmul.py:65:90 ]
	s_xor_b32 s1, s1, s3
	.loc	1 14 44                         ; persistent_matmul.py:14:44 @[ persistent_matmul.py:65:90 ]
	s_xor_b32 s2, s0, s5
	s_abs_i32 s0, s0
	.loc	1 13 37                         ; persistent_matmul.py:13:37 @[ persistent_matmul.py:65:90 ]
	s_sub_i32 s1, s1, s3
	.loc	1 14 44                         ; persistent_matmul.py:14:44 @[ persistent_matmul.py:65:90 ]
	s_mul_hi_u32 s3, s0, s7
	s_ashr_i32 s2, s2, 31
	s_mul_i32 s5, s3, s6
	.loc	1 13 27                         ; persistent_matmul.py:13:27 @[ persistent_matmul.py:65:90 ]
	s_add_i32 s4, s4, s1
	.loc	1 14 44                         ; persistent_matmul.py:14:44 @[ persistent_matmul.py:65:90 ]
	s_sub_i32 s0, s0, s5
	s_add_i32 s1, s3, 1
	s_sub_i32 s5, s0, s6
	s_cmp_ge_u32 s0, s6
	s_cselect_b32 s1, s1, s3
	s_cselect_b32 s0, s5, s0
	s_add_i32 s3, s1, 1
	s_cmp_ge_u32 s0, s6
	s_cselect_b32 s0, s3, s1
.Ltmp48:
	.loc	1 66 26                         ; persistent_matmul.py:66:26
	s_lshl_b32 s17, s4, 6
.Ltmp49:
	.loc	1 14 44                         ; persistent_matmul.py:14:44 @[ persistent_matmul.py:65:90 ]
	s_xor_b32 s0, s0, s2
.Ltmp50:
	.loc	1 66 41                         ; persistent_matmul.py:66:41
	v_or_b32_e32 v33, s17, v65
.Ltmp51:
	.loc	1 14 44                         ; persistent_matmul.py:14:44 @[ persistent_matmul.py:65:90 ]
	s_sub_i32 s0, s0, s2
	s_delay_alu instid0(SALU_CYCLE_1) | instskip(NEXT) | instid1(VALU_DEP_1)
.Ltmp52:
	.loc	1 67 26                         ; persistent_matmul.py:67:26
	s_lshl_b32 s24, s0, 6
	.loc	1 68 37                         ; persistent_matmul.py:68:37
	v_mul_lo_u32 v34, v33, s18
	.loc	1 67 41                         ; persistent_matmul.py:67:41
	v_or_b32_e32 v35, s24, v66
	.loc	1 69 37                         ; persistent_matmul.py:69:37
	v_cmp_gt_i32_e64 s10, s22, v33
	s_delay_alu instid0(VALU_DEP_2) | instskip(SKIP_3) | instid1(VALU_DEP_1)
	.loc	1 68 68                         ; persistent_matmul.py:68:68
	v_mul_lo_u32 v32, v35, s19
	.loc	1 69 62                         ; persistent_matmul.py:69:62
	v_cmp_gt_i32_e32 vcc_lo, s23, v35
	.loc	1 68 25                         ; persistent_matmul.py:68:25
	v_ashrrev_i32_e32 v36, 31, v34
	v_add_co_u32 v44, s0, s20, v34
	v_add_co_ci_u32_e64 v45, null, s21, v36, s0
	.loc	1 68 56 is_stmt 0               ; persistent_matmul.py:68:56
	v_ashrrev_i32_e32 v33, 31, v32
	.loc	1 69 43 is_stmt 1               ; persistent_matmul.py:69:43
	s_and_b32 s0, s10, vcc_lo
	s_delay_alu instid0(SALU_CYCLE_1)
	.loc	1 74 25                         ; persistent_matmul.py:74:25
	s_and_saveexec_b32 s1, s0
	s_cbranch_execz .LBB0_207
; %bb.206:
	.loc	1 71 31                         ; persistent_matmul.py:71:31
	v_and_b32_e32 v34, 0x7fffffff, v24
	v_lshrrev_b32_e32 v36, 24, v24
	s_delay_alu instid0(VALU_DEP_2) | instskip(SKIP_1) | instid1(VALU_DEP_2)
	v_bfe_u32 v35, v34, 20, 1
	v_cmp_gt_u32_e64 s0, 0x43e80000, v34
	v_add3_u32 v35, v34, v35, 0x7ffff
	s_delay_alu instid0(VALU_DEP_1) | instskip(NEXT) | instid1(VALU_DEP_1)
	v_and_b32_e32 v35, 0xfff00000, v35
	v_max_u32_e32 v35, 0x3c800000, v35
	s_delay_alu instid0(VALU_DEP_1) | instskip(NEXT) | instid1(VALU_DEP_1)
	v_add_nc_u32_e32 v35, 0x4000000, v35
	v_lshrrev_b32_e32 v35, 20, v35
	s_delay_alu instid0(VALU_DEP_1) | instskip(SKIP_1) | instid1(VALU_DEP_1)
	v_cndmask_b32_e64 v35, 0x7e, v35, s0
	v_cmp_lt_u32_e64 s0, 0x3c6fffff, v34
	v_cndmask_b32_e64 v35, 7, v35, s0
	v_cmp_lt_u32_e64 s0, 0x3c500000, v34
	s_delay_alu instid0(VALU_DEP_1) | instskip(SKIP_1) | instid1(VALU_DEP_1)
	v_cndmask_b32_e64 v35, 6, v35, s0
	v_cmp_lt_u32_e64 s0, 0x3c2fffff, v34
	v_cndmask_b32_e64 v35, 5, v35, s0
	v_cmp_lt_u32_e64 s0, 0x3c100000, v34
	;; [unrolled: 5-line block ×4, first 2 shown]
	s_delay_alu instid0(VALU_DEP_1) | instskip(SKIP_2) | instid1(VALU_DEP_2)
	v_cndmask_b32_e64 v34, 0, v35, s0
	v_cmp_o_f32_e64 s0, v24, v24
	v_and_b32_e32 v35, 0x80, v36
	v_cndmask_b32_e64 v24, 0x7f, v34, s0
	.loc	1 68 56                         ; persistent_matmul.py:68:56
	v_add_co_u32 v34, s0, v44, v32
	s_delay_alu instid0(VALU_DEP_2)
	.loc	1 71 31                         ; persistent_matmul.py:71:31
	v_or_b32_e32 v24, v24, v35
	.loc	1 68 56                         ; persistent_matmul.py:68:56
	v_add_co_ci_u32_e64 v35, null, v45, v33, s0
	.loc	1 74 25                         ; persistent_matmul.py:74:25
	global_store_b8 v[34:35], v24, off
.LBB0_207:
	.loc	1 0 25 is_stmt 0                ; persistent_matmul.py:0:25
	s_or_b32 exec_lo, exec_lo, s1
	.loc	1 67 41 is_stmt 1               ; persistent_matmul.py:67:41
	v_or_b32_e32 v34, s24, v68
	s_delay_alu instid0(VALU_DEP_1)
	.loc	1 68 68                         ; persistent_matmul.py:68:68
	v_mul_lo_u32 v24, v34, s19
	.loc	1 69 62                         ; persistent_matmul.py:69:62
	v_cmp_gt_i32_e64 s0, s23, v34
	.loc	1 69 43 is_stmt 0               ; persistent_matmul.py:69:43
	s_and_b32 s1, s10, s0
	.loc	1 68 56 is_stmt 1               ; persistent_matmul.py:68:56
	v_ashrrev_i32_e32 v34, 31, v24
	.loc	1 74 25                         ; persistent_matmul.py:74:25
	s_and_saveexec_b32 s2, s1
	s_cbranch_execz .LBB0_209
; %bb.208:
	.loc	1 71 31                         ; persistent_matmul.py:71:31
	v_and_b32_e32 v35, 0x7fffffff, v25
	v_lshrrev_b32_e32 v37, 24, v25
	s_delay_alu instid0(VALU_DEP_2) | instskip(SKIP_1) | instid1(VALU_DEP_3)
	v_bfe_u32 v36, v35, 20, 1
	v_cmp_gt_u32_e64 s1, 0x43e80000, v35
	v_and_b32_e32 v37, 0x80, v37
	s_delay_alu instid0(VALU_DEP_3) | instskip(NEXT) | instid1(VALU_DEP_1)
	v_add3_u32 v36, v35, v36, 0x7ffff
	v_and_b32_e32 v36, 0xfff00000, v36
	s_delay_alu instid0(VALU_DEP_1) | instskip(NEXT) | instid1(VALU_DEP_1)
	v_max_u32_e32 v36, 0x3c800000, v36
	v_add_nc_u32_e32 v36, 0x4000000, v36
	s_delay_alu instid0(VALU_DEP_1) | instskip(NEXT) | instid1(VALU_DEP_1)
	v_lshrrev_b32_e32 v36, 20, v36
	v_cndmask_b32_e64 v36, 0x7e, v36, s1
	v_cmp_lt_u32_e64 s1, 0x3c6fffff, v35
	s_delay_alu instid0(VALU_DEP_1) | instskip(SKIP_1) | instid1(VALU_DEP_1)
	v_cndmask_b32_e64 v36, 7, v36, s1
	v_cmp_lt_u32_e64 s1, 0x3c500000, v35
	v_cndmask_b32_e64 v36, 6, v36, s1
	v_cmp_lt_u32_e64 s1, 0x3c2fffff, v35
	s_delay_alu instid0(VALU_DEP_1) | instskip(SKIP_1) | instid1(VALU_DEP_1)
	v_cndmask_b32_e64 v36, 5, v36, s1
	v_cmp_lt_u32_e64 s1, 0x3c100000, v35
	;; [unrolled: 5-line block ×4, first 2 shown]
	v_cndmask_b32_e64 v35, 0, v36, s1
	v_cmp_o_f32_e64 s1, v25, v25
	s_delay_alu instid0(VALU_DEP_1) | instskip(SKIP_1) | instid1(VALU_DEP_1)
	v_cndmask_b32_e64 v25, 0x7f, v35, s1
	.loc	1 68 56                         ; persistent_matmul.py:68:56
	v_add_co_u32 v35, s1, v44, v24
	v_add_co_ci_u32_e64 v36, null, v45, v34, s1
	s_delay_alu instid0(VALU_DEP_3)
	.loc	1 71 31                         ; persistent_matmul.py:71:31
	v_or_b32_e32 v25, v25, v37
	.loc	1 74 25                         ; persistent_matmul.py:74:25
	global_store_b8 v[35:36], v25, off
.LBB0_209:
	.loc	1 0 25 is_stmt 0                ; persistent_matmul.py:0:25
	s_or_b32 exec_lo, exec_lo, s2
	.loc	1 67 41 is_stmt 1               ; persistent_matmul.py:67:41
	v_or_b32_e32 v35, s24, v69
	s_delay_alu instid0(VALU_DEP_1)
	.loc	1 68 68                         ; persistent_matmul.py:68:68
	v_mul_lo_u32 v25, v35, s19
	.loc	1 69 62                         ; persistent_matmul.py:69:62
	v_cmp_gt_i32_e64 s1, s23, v35
	.loc	1 69 43 is_stmt 0               ; persistent_matmul.py:69:43
	s_and_b32 s2, s10, s1
	.loc	1 68 56 is_stmt 1               ; persistent_matmul.py:68:56
	v_ashrrev_i32_e32 v35, 31, v25
	.loc	1 74 25                         ; persistent_matmul.py:74:25
	s_and_saveexec_b32 s3, s2
	s_cbranch_execz .LBB0_211
; %bb.210:
	.loc	1 71 31                         ; persistent_matmul.py:71:31
	v_and_b32_e32 v36, 0x7fffffff, v26
	v_lshrrev_b32_e32 v38, 24, v26
	s_delay_alu instid0(VALU_DEP_2) | instskip(SKIP_1) | instid1(VALU_DEP_3)
	v_bfe_u32 v37, v36, 20, 1
	v_cmp_gt_u32_e64 s2, 0x43e80000, v36
	v_and_b32_e32 v38, 0x80, v38
	s_delay_alu instid0(VALU_DEP_3) | instskip(NEXT) | instid1(VALU_DEP_1)
	v_add3_u32 v37, v36, v37, 0x7ffff
	v_and_b32_e32 v37, 0xfff00000, v37
	s_delay_alu instid0(VALU_DEP_1) | instskip(NEXT) | instid1(VALU_DEP_1)
	v_max_u32_e32 v37, 0x3c800000, v37
	v_add_nc_u32_e32 v37, 0x4000000, v37
	s_delay_alu instid0(VALU_DEP_1) | instskip(NEXT) | instid1(VALU_DEP_1)
	v_lshrrev_b32_e32 v37, 20, v37
	v_cndmask_b32_e64 v37, 0x7e, v37, s2
	v_cmp_lt_u32_e64 s2, 0x3c6fffff, v36
	s_delay_alu instid0(VALU_DEP_1) | instskip(SKIP_1) | instid1(VALU_DEP_1)
	v_cndmask_b32_e64 v37, 7, v37, s2
	v_cmp_lt_u32_e64 s2, 0x3c500000, v36
	v_cndmask_b32_e64 v37, 6, v37, s2
	v_cmp_lt_u32_e64 s2, 0x3c2fffff, v36
	s_delay_alu instid0(VALU_DEP_1) | instskip(SKIP_1) | instid1(VALU_DEP_1)
	v_cndmask_b32_e64 v37, 5, v37, s2
	v_cmp_lt_u32_e64 s2, 0x3c100000, v36
	;; [unrolled: 5-line block ×4, first 2 shown]
	v_cndmask_b32_e64 v36, 0, v37, s2
	v_cmp_o_f32_e64 s2, v26, v26
	s_delay_alu instid0(VALU_DEP_1) | instskip(SKIP_1) | instid1(VALU_DEP_1)
	v_cndmask_b32_e64 v26, 0x7f, v36, s2
	.loc	1 68 56                         ; persistent_matmul.py:68:56
	v_add_co_u32 v36, s2, v44, v25
	v_add_co_ci_u32_e64 v37, null, v45, v35, s2
	s_delay_alu instid0(VALU_DEP_3)
	.loc	1 71 31                         ; persistent_matmul.py:71:31
	v_or_b32_e32 v26, v26, v38
	.loc	1 74 25                         ; persistent_matmul.py:74:25
	global_store_b8 v[36:37], v26, off
.LBB0_211:
	.loc	1 0 25 is_stmt 0                ; persistent_matmul.py:0:25
	s_or_b32 exec_lo, exec_lo, s3
	.loc	1 67 41 is_stmt 1               ; persistent_matmul.py:67:41
	v_or_b32_e32 v36, s24, v70
	s_delay_alu instid0(VALU_DEP_1)
	.loc	1 68 68                         ; persistent_matmul.py:68:68
	v_mul_lo_u32 v26, v36, s19
	.loc	1 69 62                         ; persistent_matmul.py:69:62
	v_cmp_gt_i32_e64 s2, s23, v36
	.loc	1 69 43 is_stmt 0               ; persistent_matmul.py:69:43
	s_and_b32 s3, s10, s2
	.loc	1 68 56 is_stmt 1               ; persistent_matmul.py:68:56
	v_ashrrev_i32_e32 v36, 31, v26
	.loc	1 74 25                         ; persistent_matmul.py:74:25
	s_and_saveexec_b32 s4, s3
	s_cbranch_execz .LBB0_213
; %bb.212:
	.loc	1 71 31                         ; persistent_matmul.py:71:31
	v_and_b32_e32 v37, 0x7fffffff, v27
	v_lshrrev_b32_e32 v39, 24, v27
	s_delay_alu instid0(VALU_DEP_2) | instskip(SKIP_1) | instid1(VALU_DEP_3)
	v_bfe_u32 v38, v37, 20, 1
	v_cmp_gt_u32_e64 s3, 0x43e80000, v37
	v_and_b32_e32 v39, 0x80, v39
	s_delay_alu instid0(VALU_DEP_3) | instskip(NEXT) | instid1(VALU_DEP_1)
	v_add3_u32 v38, v37, v38, 0x7ffff
	v_and_b32_e32 v38, 0xfff00000, v38
	s_delay_alu instid0(VALU_DEP_1) | instskip(NEXT) | instid1(VALU_DEP_1)
	v_max_u32_e32 v38, 0x3c800000, v38
	v_add_nc_u32_e32 v38, 0x4000000, v38
	s_delay_alu instid0(VALU_DEP_1) | instskip(NEXT) | instid1(VALU_DEP_1)
	v_lshrrev_b32_e32 v38, 20, v38
	v_cndmask_b32_e64 v38, 0x7e, v38, s3
	v_cmp_lt_u32_e64 s3, 0x3c6fffff, v37
	s_delay_alu instid0(VALU_DEP_1) | instskip(SKIP_1) | instid1(VALU_DEP_1)
	v_cndmask_b32_e64 v38, 7, v38, s3
	v_cmp_lt_u32_e64 s3, 0x3c500000, v37
	v_cndmask_b32_e64 v38, 6, v38, s3
	v_cmp_lt_u32_e64 s3, 0x3c2fffff, v37
	s_delay_alu instid0(VALU_DEP_1) | instskip(SKIP_1) | instid1(VALU_DEP_1)
	v_cndmask_b32_e64 v38, 5, v38, s3
	v_cmp_lt_u32_e64 s3, 0x3c100000, v37
	;; [unrolled: 5-line block ×4, first 2 shown]
	v_cndmask_b32_e64 v37, 0, v38, s3
	v_cmp_o_f32_e64 s3, v27, v27
	s_delay_alu instid0(VALU_DEP_1) | instskip(SKIP_1) | instid1(VALU_DEP_1)
	v_cndmask_b32_e64 v27, 0x7f, v37, s3
	.loc	1 68 56                         ; persistent_matmul.py:68:56
	v_add_co_u32 v37, s3, v44, v26
	v_add_co_ci_u32_e64 v38, null, v45, v36, s3
	s_delay_alu instid0(VALU_DEP_3)
	.loc	1 71 31                         ; persistent_matmul.py:71:31
	v_or_b32_e32 v27, v27, v39
	.loc	1 74 25                         ; persistent_matmul.py:74:25
	global_store_b8 v[37:38], v27, off
.LBB0_213:
	.loc	1 0 25 is_stmt 0                ; persistent_matmul.py:0:25
	s_or_b32 exec_lo, exec_lo, s4
	.loc	1 67 41 is_stmt 1               ; persistent_matmul.py:67:41
	v_or_b32_e32 v37, s24, v71
	s_delay_alu instid0(VALU_DEP_1)
	.loc	1 68 68                         ; persistent_matmul.py:68:68
	v_mul_lo_u32 v27, v37, s19
	.loc	1 69 62                         ; persistent_matmul.py:69:62
	v_cmp_gt_i32_e64 s3, s23, v37
	.loc	1 69 43 is_stmt 0               ; persistent_matmul.py:69:43
	s_and_b32 s4, s10, s3
	.loc	1 68 56 is_stmt 1               ; persistent_matmul.py:68:56
	v_ashrrev_i32_e32 v37, 31, v27
	.loc	1 74 25                         ; persistent_matmul.py:74:25
	s_and_saveexec_b32 s5, s4
	s_cbranch_execz .LBB0_215
; %bb.214:
	.loc	1 71 31                         ; persistent_matmul.py:71:31
	v_and_b32_e32 v38, 0x7fffffff, v28
	v_lshrrev_b32_e32 v40, 24, v28
	s_delay_alu instid0(VALU_DEP_2) | instskip(SKIP_1) | instid1(VALU_DEP_3)
	v_bfe_u32 v39, v38, 20, 1
	v_cmp_gt_u32_e64 s4, 0x43e80000, v38
	v_and_b32_e32 v40, 0x80, v40
	s_delay_alu instid0(VALU_DEP_3) | instskip(NEXT) | instid1(VALU_DEP_1)
	v_add3_u32 v39, v38, v39, 0x7ffff
	v_and_b32_e32 v39, 0xfff00000, v39
	s_delay_alu instid0(VALU_DEP_1) | instskip(NEXT) | instid1(VALU_DEP_1)
	v_max_u32_e32 v39, 0x3c800000, v39
	v_add_nc_u32_e32 v39, 0x4000000, v39
	s_delay_alu instid0(VALU_DEP_1) | instskip(NEXT) | instid1(VALU_DEP_1)
	v_lshrrev_b32_e32 v39, 20, v39
	v_cndmask_b32_e64 v39, 0x7e, v39, s4
	v_cmp_lt_u32_e64 s4, 0x3c6fffff, v38
	s_delay_alu instid0(VALU_DEP_1) | instskip(SKIP_1) | instid1(VALU_DEP_1)
	v_cndmask_b32_e64 v39, 7, v39, s4
	v_cmp_lt_u32_e64 s4, 0x3c500000, v38
	v_cndmask_b32_e64 v39, 6, v39, s4
	v_cmp_lt_u32_e64 s4, 0x3c2fffff, v38
	s_delay_alu instid0(VALU_DEP_1) | instskip(SKIP_1) | instid1(VALU_DEP_1)
	v_cndmask_b32_e64 v39, 5, v39, s4
	v_cmp_lt_u32_e64 s4, 0x3c100000, v38
	;; [unrolled: 5-line block ×4, first 2 shown]
	v_cndmask_b32_e64 v38, 0, v39, s4
	v_cmp_o_f32_e64 s4, v28, v28
	s_delay_alu instid0(VALU_DEP_1) | instskip(SKIP_1) | instid1(VALU_DEP_1)
	v_cndmask_b32_e64 v28, 0x7f, v38, s4
	.loc	1 68 56                         ; persistent_matmul.py:68:56
	v_add_co_u32 v38, s4, v44, v27
	v_add_co_ci_u32_e64 v39, null, v45, v37, s4
	s_delay_alu instid0(VALU_DEP_3)
	.loc	1 71 31                         ; persistent_matmul.py:71:31
	v_or_b32_e32 v28, v28, v40
	.loc	1 74 25                         ; persistent_matmul.py:74:25
	global_store_b8 v[38:39], v28, off
.LBB0_215:
	.loc	1 0 25 is_stmt 0                ; persistent_matmul.py:0:25
	s_or_b32 exec_lo, exec_lo, s5
	.loc	1 67 41 is_stmt 1               ; persistent_matmul.py:67:41
	v_or_b32_e32 v38, s24, v72
	s_delay_alu instid0(VALU_DEP_1)
	.loc	1 68 68                         ; persistent_matmul.py:68:68
	v_mul_lo_u32 v28, v38, s19
	.loc	1 69 62                         ; persistent_matmul.py:69:62
	v_cmp_gt_i32_e64 s4, s23, v38
	.loc	1 69 43 is_stmt 0               ; persistent_matmul.py:69:43
	s_and_b32 s5, s10, s4
	.loc	1 68 56 is_stmt 1               ; persistent_matmul.py:68:56
	v_ashrrev_i32_e32 v38, 31, v28
	.loc	1 74 25                         ; persistent_matmul.py:74:25
	s_and_saveexec_b32 s6, s5
	s_cbranch_execz .LBB0_217
; %bb.216:
	.loc	1 71 31                         ; persistent_matmul.py:71:31
	v_and_b32_e32 v39, 0x7fffffff, v29
	v_lshrrev_b32_e32 v41, 24, v29
	s_delay_alu instid0(VALU_DEP_2) | instskip(SKIP_1) | instid1(VALU_DEP_3)
	v_bfe_u32 v40, v39, 20, 1
	v_cmp_gt_u32_e64 s5, 0x43e80000, v39
	v_and_b32_e32 v41, 0x80, v41
	s_delay_alu instid0(VALU_DEP_3) | instskip(NEXT) | instid1(VALU_DEP_1)
	v_add3_u32 v40, v39, v40, 0x7ffff
	v_and_b32_e32 v40, 0xfff00000, v40
	s_delay_alu instid0(VALU_DEP_1) | instskip(NEXT) | instid1(VALU_DEP_1)
	v_max_u32_e32 v40, 0x3c800000, v40
	v_add_nc_u32_e32 v40, 0x4000000, v40
	s_delay_alu instid0(VALU_DEP_1) | instskip(NEXT) | instid1(VALU_DEP_1)
	v_lshrrev_b32_e32 v40, 20, v40
	v_cndmask_b32_e64 v40, 0x7e, v40, s5
	v_cmp_lt_u32_e64 s5, 0x3c6fffff, v39
	s_delay_alu instid0(VALU_DEP_1) | instskip(SKIP_1) | instid1(VALU_DEP_1)
	v_cndmask_b32_e64 v40, 7, v40, s5
	v_cmp_lt_u32_e64 s5, 0x3c500000, v39
	v_cndmask_b32_e64 v40, 6, v40, s5
	v_cmp_lt_u32_e64 s5, 0x3c2fffff, v39
	s_delay_alu instid0(VALU_DEP_1) | instskip(SKIP_1) | instid1(VALU_DEP_1)
	v_cndmask_b32_e64 v40, 5, v40, s5
	v_cmp_lt_u32_e64 s5, 0x3c100000, v39
	;; [unrolled: 5-line block ×4, first 2 shown]
	v_cndmask_b32_e64 v39, 0, v40, s5
	v_cmp_o_f32_e64 s5, v29, v29
	s_delay_alu instid0(VALU_DEP_1) | instskip(SKIP_1) | instid1(VALU_DEP_1)
	v_cndmask_b32_e64 v29, 0x7f, v39, s5
	.loc	1 68 56                         ; persistent_matmul.py:68:56
	v_add_co_u32 v39, s5, v44, v28
	v_add_co_ci_u32_e64 v40, null, v45, v38, s5
	s_delay_alu instid0(VALU_DEP_3)
	.loc	1 71 31                         ; persistent_matmul.py:71:31
	v_or_b32_e32 v29, v29, v41
	.loc	1 74 25                         ; persistent_matmul.py:74:25
	global_store_b8 v[39:40], v29, off
.LBB0_217:
	.loc	1 0 25 is_stmt 0                ; persistent_matmul.py:0:25
	s_or_b32 exec_lo, exec_lo, s6
	.loc	1 67 41 is_stmt 1               ; persistent_matmul.py:67:41
	v_or_b32_e32 v39, s24, v73
	s_delay_alu instid0(VALU_DEP_1)
	.loc	1 68 68                         ; persistent_matmul.py:68:68
	v_mul_lo_u32 v29, v39, s19
	.loc	1 69 62                         ; persistent_matmul.py:69:62
	v_cmp_gt_i32_e64 s5, s23, v39
	.loc	1 69 43 is_stmt 0               ; persistent_matmul.py:69:43
	s_and_b32 s6, s10, s5
	.loc	1 68 56 is_stmt 1               ; persistent_matmul.py:68:56
	v_ashrrev_i32_e32 v39, 31, v29
	.loc	1 74 25                         ; persistent_matmul.py:74:25
	s_and_saveexec_b32 s7, s6
	s_cbranch_execz .LBB0_219
; %bb.218:
	.loc	1 71 31                         ; persistent_matmul.py:71:31
	v_and_b32_e32 v40, 0x7fffffff, v30
	v_lshrrev_b32_e32 v42, 24, v30
	s_delay_alu instid0(VALU_DEP_2) | instskip(SKIP_1) | instid1(VALU_DEP_3)
	v_bfe_u32 v41, v40, 20, 1
	v_cmp_gt_u32_e64 s6, 0x43e80000, v40
	v_and_b32_e32 v42, 0x80, v42
	s_delay_alu instid0(VALU_DEP_3) | instskip(NEXT) | instid1(VALU_DEP_1)
	v_add3_u32 v41, v40, v41, 0x7ffff
	v_and_b32_e32 v41, 0xfff00000, v41
	s_delay_alu instid0(VALU_DEP_1) | instskip(NEXT) | instid1(VALU_DEP_1)
	v_max_u32_e32 v41, 0x3c800000, v41
	v_add_nc_u32_e32 v41, 0x4000000, v41
	s_delay_alu instid0(VALU_DEP_1) | instskip(NEXT) | instid1(VALU_DEP_1)
	v_lshrrev_b32_e32 v41, 20, v41
	v_cndmask_b32_e64 v41, 0x7e, v41, s6
	v_cmp_lt_u32_e64 s6, 0x3c6fffff, v40
	s_delay_alu instid0(VALU_DEP_1) | instskip(SKIP_1) | instid1(VALU_DEP_1)
	v_cndmask_b32_e64 v41, 7, v41, s6
	v_cmp_lt_u32_e64 s6, 0x3c500000, v40
	v_cndmask_b32_e64 v41, 6, v41, s6
	v_cmp_lt_u32_e64 s6, 0x3c2fffff, v40
	s_delay_alu instid0(VALU_DEP_1) | instskip(SKIP_1) | instid1(VALU_DEP_1)
	v_cndmask_b32_e64 v41, 5, v41, s6
	v_cmp_lt_u32_e64 s6, 0x3c100000, v40
	;; [unrolled: 5-line block ×4, first 2 shown]
	v_cndmask_b32_e64 v40, 0, v41, s6
	v_cmp_o_f32_e64 s6, v30, v30
	s_delay_alu instid0(VALU_DEP_1) | instskip(SKIP_1) | instid1(VALU_DEP_1)
	v_cndmask_b32_e64 v30, 0x7f, v40, s6
	.loc	1 68 56                         ; persistent_matmul.py:68:56
	v_add_co_u32 v40, s6, v44, v29
	v_add_co_ci_u32_e64 v41, null, v45, v39, s6
	s_delay_alu instid0(VALU_DEP_3)
	.loc	1 71 31                         ; persistent_matmul.py:71:31
	v_or_b32_e32 v30, v30, v42
	.loc	1 74 25                         ; persistent_matmul.py:74:25
	global_store_b8 v[40:41], v30, off
.LBB0_219:
	.loc	1 0 25 is_stmt 0                ; persistent_matmul.py:0:25
	s_or_b32 exec_lo, exec_lo, s7
	.loc	1 67 41 is_stmt 1               ; persistent_matmul.py:67:41
	v_or_b32_e32 v40, s24, v74
	s_delay_alu instid0(VALU_DEP_1)
	.loc	1 68 68                         ; persistent_matmul.py:68:68
	v_mul_lo_u32 v30, v40, s19
	.loc	1 69 62                         ; persistent_matmul.py:69:62
	v_cmp_gt_i32_e64 s6, s23, v40
	.loc	1 69 43 is_stmt 0               ; persistent_matmul.py:69:43
	s_and_b32 s7, s10, s6
	.loc	1 68 56 is_stmt 1               ; persistent_matmul.py:68:56
	v_ashrrev_i32_e32 v40, 31, v30
	.loc	1 74 25                         ; persistent_matmul.py:74:25
	s_and_saveexec_b32 s8, s7
	s_cbranch_execz .LBB0_221
; %bb.220:
	.loc	1 71 31                         ; persistent_matmul.py:71:31
	v_and_b32_e32 v41, 0x7fffffff, v31
	v_lshrrev_b32_e32 v43, 24, v31
	s_delay_alu instid0(VALU_DEP_2) | instskip(SKIP_1) | instid1(VALU_DEP_3)
	v_bfe_u32 v42, v41, 20, 1
	v_cmp_gt_u32_e64 s7, 0x43e80000, v41
	v_and_b32_e32 v43, 0x80, v43
	s_delay_alu instid0(VALU_DEP_3) | instskip(NEXT) | instid1(VALU_DEP_1)
	v_add3_u32 v42, v41, v42, 0x7ffff
	v_and_b32_e32 v42, 0xfff00000, v42
	s_delay_alu instid0(VALU_DEP_1) | instskip(NEXT) | instid1(VALU_DEP_1)
	v_max_u32_e32 v42, 0x3c800000, v42
	v_add_nc_u32_e32 v42, 0x4000000, v42
	s_delay_alu instid0(VALU_DEP_1) | instskip(NEXT) | instid1(VALU_DEP_1)
	v_lshrrev_b32_e32 v42, 20, v42
	v_cndmask_b32_e64 v42, 0x7e, v42, s7
	v_cmp_lt_u32_e64 s7, 0x3c6fffff, v41
	s_delay_alu instid0(VALU_DEP_1) | instskip(SKIP_1) | instid1(VALU_DEP_1)
	v_cndmask_b32_e64 v42, 7, v42, s7
	v_cmp_lt_u32_e64 s7, 0x3c500000, v41
	v_cndmask_b32_e64 v42, 6, v42, s7
	v_cmp_lt_u32_e64 s7, 0x3c2fffff, v41
	s_delay_alu instid0(VALU_DEP_1) | instskip(SKIP_1) | instid1(VALU_DEP_1)
	v_cndmask_b32_e64 v42, 5, v42, s7
	v_cmp_lt_u32_e64 s7, 0x3c100000, v41
	;; [unrolled: 5-line block ×4, first 2 shown]
	v_cndmask_b32_e64 v41, 0, v42, s7
	v_cmp_o_f32_e64 s7, v31, v31
	s_delay_alu instid0(VALU_DEP_1) | instskip(SKIP_1) | instid1(VALU_DEP_1)
	v_cndmask_b32_e64 v31, 0x7f, v41, s7
	.loc	1 68 56                         ; persistent_matmul.py:68:56
	v_add_co_u32 v41, s7, v44, v30
	v_add_co_ci_u32_e64 v42, null, v45, v40, s7
	s_delay_alu instid0(VALU_DEP_3)
	.loc	1 71 31                         ; persistent_matmul.py:71:31
	v_or_b32_e32 v31, v31, v43
	.loc	1 74 25                         ; persistent_matmul.py:74:25
	global_store_b8 v[41:42], v31, off
.LBB0_221:
	.loc	1 0 25 is_stmt 0                ; persistent_matmul.py:0:25
	s_or_b32 exec_lo, exec_lo, s8
	.loc	1 67 41 is_stmt 1               ; persistent_matmul.py:67:41
	v_or_b32_e32 v41, s24, v75
	s_delay_alu instid0(VALU_DEP_1)
	.loc	1 68 68                         ; persistent_matmul.py:68:68
	v_mul_lo_u32 v31, v41, s19
	.loc	1 69 62                         ; persistent_matmul.py:69:62
	v_cmp_gt_i32_e64 s7, s23, v41
	.loc	1 69 43 is_stmt 0               ; persistent_matmul.py:69:43
	s_and_b32 s8, s10, s7
	.loc	1 68 56 is_stmt 1               ; persistent_matmul.py:68:56
	v_ashrrev_i32_e32 v41, 31, v31
	.loc	1 74 25                         ; persistent_matmul.py:74:25
	s_and_saveexec_b32 s9, s8
	s_cbranch_execz .LBB0_223
; %bb.222:
	.loc	1 71 31                         ; persistent_matmul.py:71:31
	v_and_b32_e32 v42, 0x7fffffff, v16
	v_lshrrev_b32_e32 v46, 24, v16
	s_delay_alu instid0(VALU_DEP_2) | instskip(SKIP_1) | instid1(VALU_DEP_3)
	v_bfe_u32 v43, v42, 20, 1
	v_cmp_gt_u32_e64 s8, 0x43e80000, v42
	v_and_b32_e32 v46, 0x80, v46
	s_delay_alu instid0(VALU_DEP_3) | instskip(NEXT) | instid1(VALU_DEP_1)
	v_add3_u32 v43, v42, v43, 0x7ffff
	v_and_b32_e32 v43, 0xfff00000, v43
	s_delay_alu instid0(VALU_DEP_1) | instskip(NEXT) | instid1(VALU_DEP_1)
	v_max_u32_e32 v43, 0x3c800000, v43
	v_add_nc_u32_e32 v43, 0x4000000, v43
	s_delay_alu instid0(VALU_DEP_1) | instskip(NEXT) | instid1(VALU_DEP_1)
	v_lshrrev_b32_e32 v43, 20, v43
	v_cndmask_b32_e64 v43, 0x7e, v43, s8
	v_cmp_lt_u32_e64 s8, 0x3c6fffff, v42
	s_delay_alu instid0(VALU_DEP_1) | instskip(SKIP_1) | instid1(VALU_DEP_1)
	v_cndmask_b32_e64 v43, 7, v43, s8
	v_cmp_lt_u32_e64 s8, 0x3c500000, v42
	v_cndmask_b32_e64 v43, 6, v43, s8
	v_cmp_lt_u32_e64 s8, 0x3c2fffff, v42
	s_delay_alu instid0(VALU_DEP_1) | instskip(SKIP_1) | instid1(VALU_DEP_1)
	v_cndmask_b32_e64 v43, 5, v43, s8
	v_cmp_lt_u32_e64 s8, 0x3c100000, v42
	;; [unrolled: 5-line block ×4, first 2 shown]
	v_cndmask_b32_e64 v42, 0, v43, s8
	v_cmp_o_f32_e64 s8, v16, v16
	s_delay_alu instid0(VALU_DEP_1) | instskip(SKIP_1) | instid1(VALU_DEP_1)
	v_cndmask_b32_e64 v16, 0x7f, v42, s8
	.loc	1 68 56                         ; persistent_matmul.py:68:56
	v_add_co_u32 v42, s8, v44, v31
	v_add_co_ci_u32_e64 v43, null, v45, v41, s8
	s_delay_alu instid0(VALU_DEP_3)
	.loc	1 71 31                         ; persistent_matmul.py:71:31
	v_or_b32_e32 v16, v16, v46
	.loc	1 74 25                         ; persistent_matmul.py:74:25
	global_store_b8 v[42:43], v16, off
.LBB0_223:
	.loc	1 0 25 is_stmt 0                ; persistent_matmul.py:0:25
	s_or_b32 exec_lo, exec_lo, s9
	.loc	1 67 41 is_stmt 1               ; persistent_matmul.py:67:41
	v_or_b32_e32 v42, s24, v76
	s_delay_alu instid0(VALU_DEP_1)
	.loc	1 68 68                         ; persistent_matmul.py:68:68
	v_mul_lo_u32 v16, v42, s19
	.loc	1 69 62                         ; persistent_matmul.py:69:62
	v_cmp_gt_i32_e64 s8, s23, v42
	.loc	1 69 43 is_stmt 0               ; persistent_matmul.py:69:43
	s_and_b32 s9, s10, s8
	.loc	1 68 56 is_stmt 1               ; persistent_matmul.py:68:56
	v_ashrrev_i32_e32 v42, 31, v16
	.loc	1 74 25                         ; persistent_matmul.py:74:25
	s_and_saveexec_b32 s11, s9
	s_cbranch_execz .LBB0_225
; %bb.224:
	.loc	1 71 31                         ; persistent_matmul.py:71:31
	v_and_b32_e32 v43, 0x7fffffff, v17
	v_lshrrev_b32_e32 v47, 24, v17
	s_delay_alu instid0(VALU_DEP_2) | instskip(SKIP_1) | instid1(VALU_DEP_3)
	v_bfe_u32 v46, v43, 20, 1
	v_cmp_gt_u32_e64 s9, 0x43e80000, v43
	v_and_b32_e32 v48, 0x80, v47
	s_delay_alu instid0(VALU_DEP_3) | instskip(NEXT) | instid1(VALU_DEP_1)
	v_add3_u32 v46, v43, v46, 0x7ffff
	v_and_b32_e32 v46, 0xfff00000, v46
	s_delay_alu instid0(VALU_DEP_1) | instskip(NEXT) | instid1(VALU_DEP_1)
	v_max_u32_e32 v46, 0x3c800000, v46
	v_add_nc_u32_e32 v46, 0x4000000, v46
	s_delay_alu instid0(VALU_DEP_1) | instskip(NEXT) | instid1(VALU_DEP_1)
	v_lshrrev_b32_e32 v46, 20, v46
	v_cndmask_b32_e64 v46, 0x7e, v46, s9
	v_cmp_lt_u32_e64 s9, 0x3c6fffff, v43
	s_delay_alu instid0(VALU_DEP_1) | instskip(SKIP_1) | instid1(VALU_DEP_1)
	v_cndmask_b32_e64 v46, 7, v46, s9
	v_cmp_lt_u32_e64 s9, 0x3c500000, v43
	v_cndmask_b32_e64 v46, 6, v46, s9
	v_cmp_lt_u32_e64 s9, 0x3c2fffff, v43
	s_delay_alu instid0(VALU_DEP_1) | instskip(SKIP_1) | instid1(VALU_DEP_1)
	v_cndmask_b32_e64 v46, 5, v46, s9
	v_cmp_lt_u32_e64 s9, 0x3c100000, v43
	;; [unrolled: 5-line block ×4, first 2 shown]
	v_cndmask_b32_e64 v43, 0, v46, s9
	v_cmp_o_f32_e64 s9, v17, v17
	s_delay_alu instid0(VALU_DEP_1) | instskip(SKIP_1) | instid1(VALU_DEP_1)
	v_cndmask_b32_e64 v17, 0x7f, v43, s9
	.loc	1 68 56                         ; persistent_matmul.py:68:56
	v_add_co_u32 v46, s9, v44, v16
	v_add_co_ci_u32_e64 v47, null, v45, v42, s9
	s_delay_alu instid0(VALU_DEP_3)
	.loc	1 71 31                         ; persistent_matmul.py:71:31
	v_or_b32_e32 v17, v17, v48
	.loc	1 74 25                         ; persistent_matmul.py:74:25
	global_store_b8 v[46:47], v17, off
.LBB0_225:
	.loc	1 0 25 is_stmt 0                ; persistent_matmul.py:0:25
	s_or_b32 exec_lo, exec_lo, s11
	.loc	1 67 41 is_stmt 1               ; persistent_matmul.py:67:41
	v_or_b32_e32 v43, s24, v77
	s_delay_alu instid0(VALU_DEP_1)
	.loc	1 68 68                         ; persistent_matmul.py:68:68
	v_mul_lo_u32 v17, v43, s19
	.loc	1 69 62                         ; persistent_matmul.py:69:62
	v_cmp_gt_i32_e64 s9, s23, v43
	.loc	1 69 43 is_stmt 0               ; persistent_matmul.py:69:43
	s_and_b32 s11, s10, s9
	.loc	1 68 56 is_stmt 1               ; persistent_matmul.py:68:56
	v_ashrrev_i32_e32 v43, 31, v17
	.loc	1 74 25                         ; persistent_matmul.py:74:25
	s_and_saveexec_b32 s12, s11
	s_cbranch_execz .LBB0_227
; %bb.226:
	.loc	1 71 31                         ; persistent_matmul.py:71:31
	v_and_b32_e32 v46, 0x7fffffff, v18
	v_lshrrev_b32_e32 v48, 24, v18
	s_delay_alu instid0(VALU_DEP_2) | instskip(SKIP_1) | instid1(VALU_DEP_3)
	v_bfe_u32 v47, v46, 20, 1
	v_cmp_gt_u32_e64 s11, 0x43e80000, v46
	v_and_b32_e32 v48, 0x80, v48
	s_delay_alu instid0(VALU_DEP_3) | instskip(NEXT) | instid1(VALU_DEP_1)
	v_add3_u32 v47, v46, v47, 0x7ffff
	v_and_b32_e32 v47, 0xfff00000, v47
	s_delay_alu instid0(VALU_DEP_1) | instskip(NEXT) | instid1(VALU_DEP_1)
	v_max_u32_e32 v47, 0x3c800000, v47
	v_add_nc_u32_e32 v47, 0x4000000, v47
	s_delay_alu instid0(VALU_DEP_1) | instskip(NEXT) | instid1(VALU_DEP_1)
	v_lshrrev_b32_e32 v47, 20, v47
	v_cndmask_b32_e64 v47, 0x7e, v47, s11
	v_cmp_lt_u32_e64 s11, 0x3c6fffff, v46
	s_delay_alu instid0(VALU_DEP_1) | instskip(SKIP_1) | instid1(VALU_DEP_1)
	v_cndmask_b32_e64 v47, 7, v47, s11
	v_cmp_lt_u32_e64 s11, 0x3c500000, v46
	v_cndmask_b32_e64 v47, 6, v47, s11
	v_cmp_lt_u32_e64 s11, 0x3c2fffff, v46
	s_delay_alu instid0(VALU_DEP_1) | instskip(SKIP_1) | instid1(VALU_DEP_1)
	v_cndmask_b32_e64 v47, 5, v47, s11
	v_cmp_lt_u32_e64 s11, 0x3c100000, v46
	;; [unrolled: 5-line block ×4, first 2 shown]
	v_cndmask_b32_e64 v46, 0, v47, s11
	v_cmp_o_f32_e64 s11, v18, v18
	s_delay_alu instid0(VALU_DEP_1) | instskip(SKIP_1) | instid1(VALU_DEP_1)
	v_cndmask_b32_e64 v18, 0x7f, v46, s11
	.loc	1 68 56                         ; persistent_matmul.py:68:56
	v_add_co_u32 v46, s11, v44, v17
	v_add_co_ci_u32_e64 v47, null, v45, v43, s11
	s_delay_alu instid0(VALU_DEP_3)
	.loc	1 71 31                         ; persistent_matmul.py:71:31
	v_or_b32_e32 v18, v18, v48
	.loc	1 74 25                         ; persistent_matmul.py:74:25
	global_store_b8 v[46:47], v18, off
.LBB0_227:
	.loc	1 0 25 is_stmt 0                ; persistent_matmul.py:0:25
	s_or_b32 exec_lo, exec_lo, s12
	.loc	1 67 41 is_stmt 1               ; persistent_matmul.py:67:41
	v_or_b32_e32 v46, s24, v78
	s_delay_alu instid0(VALU_DEP_1)
	.loc	1 68 68                         ; persistent_matmul.py:68:68
	v_mul_lo_u32 v18, v46, s19
	.loc	1 69 62                         ; persistent_matmul.py:69:62
	v_cmp_gt_i32_e64 s11, s23, v46
	.loc	1 69 43 is_stmt 0               ; persistent_matmul.py:69:43
	s_and_b32 s12, s10, s11
	.loc	1 68 56 is_stmt 1               ; persistent_matmul.py:68:56
	v_ashrrev_i32_e32 v46, 31, v18
	.loc	1 74 25                         ; persistent_matmul.py:74:25
	s_and_saveexec_b32 s13, s12
	s_cbranch_execz .LBB0_229
; %bb.228:
	.loc	1 71 31                         ; persistent_matmul.py:71:31
	v_and_b32_e32 v47, 0x7fffffff, v19
	v_lshrrev_b32_e32 v49, 24, v19
	s_delay_alu instid0(VALU_DEP_2) | instskip(SKIP_1) | instid1(VALU_DEP_3)
	v_bfe_u32 v48, v47, 20, 1
	v_cmp_gt_u32_e64 s12, 0x43e80000, v47
	v_and_b32_e32 v49, 0x80, v49
	s_delay_alu instid0(VALU_DEP_3) | instskip(NEXT) | instid1(VALU_DEP_1)
	v_add3_u32 v48, v47, v48, 0x7ffff
	v_and_b32_e32 v48, 0xfff00000, v48
	s_delay_alu instid0(VALU_DEP_1) | instskip(NEXT) | instid1(VALU_DEP_1)
	v_max_u32_e32 v48, 0x3c800000, v48
	v_add_nc_u32_e32 v48, 0x4000000, v48
	s_delay_alu instid0(VALU_DEP_1) | instskip(NEXT) | instid1(VALU_DEP_1)
	v_lshrrev_b32_e32 v48, 20, v48
	v_cndmask_b32_e64 v48, 0x7e, v48, s12
	v_cmp_lt_u32_e64 s12, 0x3c6fffff, v47
	s_delay_alu instid0(VALU_DEP_1) | instskip(SKIP_1) | instid1(VALU_DEP_1)
	v_cndmask_b32_e64 v48, 7, v48, s12
	v_cmp_lt_u32_e64 s12, 0x3c500000, v47
	v_cndmask_b32_e64 v48, 6, v48, s12
	v_cmp_lt_u32_e64 s12, 0x3c2fffff, v47
	s_delay_alu instid0(VALU_DEP_1) | instskip(SKIP_1) | instid1(VALU_DEP_1)
	v_cndmask_b32_e64 v48, 5, v48, s12
	v_cmp_lt_u32_e64 s12, 0x3c100000, v47
	;; [unrolled: 5-line block ×4, first 2 shown]
	v_cndmask_b32_e64 v47, 0, v48, s12
	v_cmp_o_f32_e64 s12, v19, v19
	s_delay_alu instid0(VALU_DEP_1) | instskip(SKIP_1) | instid1(VALU_DEP_1)
	v_cndmask_b32_e64 v19, 0x7f, v47, s12
	.loc	1 68 56                         ; persistent_matmul.py:68:56
	v_add_co_u32 v47, s12, v44, v18
	v_add_co_ci_u32_e64 v48, null, v45, v46, s12
	s_delay_alu instid0(VALU_DEP_3)
	.loc	1 71 31                         ; persistent_matmul.py:71:31
	v_or_b32_e32 v19, v19, v49
	.loc	1 74 25                         ; persistent_matmul.py:74:25
	global_store_b8 v[47:48], v19, off
.LBB0_229:
	.loc	1 0 25 is_stmt 0                ; persistent_matmul.py:0:25
	s_or_b32 exec_lo, exec_lo, s13
	.loc	1 67 41 is_stmt 1               ; persistent_matmul.py:67:41
	v_or_b32_e32 v47, s24, v79
	s_delay_alu instid0(VALU_DEP_1)
	.loc	1 68 68                         ; persistent_matmul.py:68:68
	v_mul_lo_u32 v19, v47, s19
	.loc	1 69 62                         ; persistent_matmul.py:69:62
	v_cmp_gt_i32_e64 s12, s23, v47
	.loc	1 69 43 is_stmt 0               ; persistent_matmul.py:69:43
	s_and_b32 s13, s10, s12
	.loc	1 68 56 is_stmt 1               ; persistent_matmul.py:68:56
	v_ashrrev_i32_e32 v47, 31, v19
	.loc	1 74 25                         ; persistent_matmul.py:74:25
	s_and_saveexec_b32 s14, s13
	s_cbranch_execz .LBB0_231
; %bb.230:
	.loc	1 71 31                         ; persistent_matmul.py:71:31
	v_and_b32_e32 v48, 0x7fffffff, v20
	v_lshrrev_b32_e32 v50, 24, v20
	s_delay_alu instid0(VALU_DEP_2) | instskip(SKIP_1) | instid1(VALU_DEP_3)
	v_bfe_u32 v49, v48, 20, 1
	v_cmp_gt_u32_e64 s13, 0x43e80000, v48
	v_and_b32_e32 v50, 0x80, v50
	s_delay_alu instid0(VALU_DEP_3) | instskip(NEXT) | instid1(VALU_DEP_1)
	v_add3_u32 v49, v48, v49, 0x7ffff
	v_and_b32_e32 v49, 0xfff00000, v49
	s_delay_alu instid0(VALU_DEP_1) | instskip(NEXT) | instid1(VALU_DEP_1)
	v_max_u32_e32 v49, 0x3c800000, v49
	v_add_nc_u32_e32 v49, 0x4000000, v49
	s_delay_alu instid0(VALU_DEP_1) | instskip(NEXT) | instid1(VALU_DEP_1)
	v_lshrrev_b32_e32 v49, 20, v49
	v_cndmask_b32_e64 v49, 0x7e, v49, s13
	v_cmp_lt_u32_e64 s13, 0x3c6fffff, v48
	s_delay_alu instid0(VALU_DEP_1) | instskip(SKIP_1) | instid1(VALU_DEP_1)
	v_cndmask_b32_e64 v49, 7, v49, s13
	v_cmp_lt_u32_e64 s13, 0x3c500000, v48
	v_cndmask_b32_e64 v49, 6, v49, s13
	v_cmp_lt_u32_e64 s13, 0x3c2fffff, v48
	s_delay_alu instid0(VALU_DEP_1) | instskip(SKIP_1) | instid1(VALU_DEP_1)
	v_cndmask_b32_e64 v49, 5, v49, s13
	v_cmp_lt_u32_e64 s13, 0x3c100000, v48
	;; [unrolled: 5-line block ×4, first 2 shown]
	v_cndmask_b32_e64 v48, 0, v49, s13
	v_cmp_o_f32_e64 s13, v20, v20
	s_delay_alu instid0(VALU_DEP_1) | instskip(SKIP_1) | instid1(VALU_DEP_1)
	v_cndmask_b32_e64 v20, 0x7f, v48, s13
	.loc	1 68 56                         ; persistent_matmul.py:68:56
	v_add_co_u32 v48, s13, v44, v19
	v_add_co_ci_u32_e64 v49, null, v45, v47, s13
	s_delay_alu instid0(VALU_DEP_3)
	.loc	1 71 31                         ; persistent_matmul.py:71:31
	v_or_b32_e32 v20, v20, v50
	.loc	1 74 25                         ; persistent_matmul.py:74:25
	global_store_b8 v[48:49], v20, off
.LBB0_231:
	.loc	1 0 25 is_stmt 0                ; persistent_matmul.py:0:25
	s_or_b32 exec_lo, exec_lo, s14
	.loc	1 67 41 is_stmt 1               ; persistent_matmul.py:67:41
	v_or_b32_e32 v48, s24, v80
	s_delay_alu instid0(VALU_DEP_1)
	.loc	1 68 68                         ; persistent_matmul.py:68:68
	v_mul_lo_u32 v20, v48, s19
	.loc	1 69 62                         ; persistent_matmul.py:69:62
	v_cmp_gt_i32_e64 s13, s23, v48
	.loc	1 69 43 is_stmt 0               ; persistent_matmul.py:69:43
	s_and_b32 s14, s10, s13
	.loc	1 68 56 is_stmt 1               ; persistent_matmul.py:68:56
	v_ashrrev_i32_e32 v48, 31, v20
	.loc	1 74 25                         ; persistent_matmul.py:74:25
	s_and_saveexec_b32 s16, s14
	s_cbranch_execz .LBB0_233
; %bb.232:
	.loc	1 71 31                         ; persistent_matmul.py:71:31
	v_and_b32_e32 v49, 0x7fffffff, v21
	v_lshrrev_b32_e32 v51, 24, v21
	s_delay_alu instid0(VALU_DEP_2) | instskip(SKIP_1) | instid1(VALU_DEP_3)
	v_bfe_u32 v50, v49, 20, 1
	v_cmp_gt_u32_e64 s14, 0x43e80000, v49
	v_and_b32_e32 v51, 0x80, v51
	s_delay_alu instid0(VALU_DEP_3) | instskip(NEXT) | instid1(VALU_DEP_1)
	v_add3_u32 v50, v49, v50, 0x7ffff
	v_and_b32_e32 v50, 0xfff00000, v50
	s_delay_alu instid0(VALU_DEP_1) | instskip(NEXT) | instid1(VALU_DEP_1)
	v_max_u32_e32 v50, 0x3c800000, v50
	v_add_nc_u32_e32 v50, 0x4000000, v50
	s_delay_alu instid0(VALU_DEP_1) | instskip(NEXT) | instid1(VALU_DEP_1)
	v_lshrrev_b32_e32 v50, 20, v50
	v_cndmask_b32_e64 v50, 0x7e, v50, s14
	v_cmp_lt_u32_e64 s14, 0x3c6fffff, v49
	s_delay_alu instid0(VALU_DEP_1) | instskip(SKIP_1) | instid1(VALU_DEP_1)
	v_cndmask_b32_e64 v50, 7, v50, s14
	v_cmp_lt_u32_e64 s14, 0x3c500000, v49
	v_cndmask_b32_e64 v50, 6, v50, s14
	v_cmp_lt_u32_e64 s14, 0x3c2fffff, v49
	s_delay_alu instid0(VALU_DEP_1) | instskip(SKIP_1) | instid1(VALU_DEP_1)
	v_cndmask_b32_e64 v50, 5, v50, s14
	v_cmp_lt_u32_e64 s14, 0x3c100000, v49
	;; [unrolled: 5-line block ×4, first 2 shown]
	v_cndmask_b32_e64 v49, 0, v50, s14
	v_cmp_o_f32_e64 s14, v21, v21
	s_delay_alu instid0(VALU_DEP_1) | instskip(SKIP_1) | instid1(VALU_DEP_1)
	v_cndmask_b32_e64 v21, 0x7f, v49, s14
	.loc	1 68 56                         ; persistent_matmul.py:68:56
	v_add_co_u32 v49, s14, v44, v20
	v_add_co_ci_u32_e64 v50, null, v45, v48, s14
	s_delay_alu instid0(VALU_DEP_3)
	.loc	1 71 31                         ; persistent_matmul.py:71:31
	v_or_b32_e32 v21, v21, v51
	.loc	1 74 25                         ; persistent_matmul.py:74:25
	global_store_b8 v[49:50], v21, off
.LBB0_233:
	.loc	1 0 25 is_stmt 0                ; persistent_matmul.py:0:25
	s_or_b32 exec_lo, exec_lo, s16
	.loc	1 67 41 is_stmt 1               ; persistent_matmul.py:67:41
	v_or_b32_e32 v49, s24, v81
	s_delay_alu instid0(VALU_DEP_1)
	.loc	1 68 68                         ; persistent_matmul.py:68:68
	v_mul_lo_u32 v21, v49, s19
	.loc	1 69 62                         ; persistent_matmul.py:69:62
	v_cmp_gt_i32_e64 s14, s23, v49
	.loc	1 69 43 is_stmt 0               ; persistent_matmul.py:69:43
	s_and_b32 s16, s10, s14
	.loc	1 68 56 is_stmt 1               ; persistent_matmul.py:68:56
	v_ashrrev_i32_e32 v49, 31, v21
	.loc	1 74 25                         ; persistent_matmul.py:74:25
	s_and_saveexec_b32 s25, s16
	s_cbranch_execz .LBB0_235
; %bb.234:
	.loc	1 71 31                         ; persistent_matmul.py:71:31
	v_and_b32_e32 v50, 0x7fffffff, v22
	v_lshrrev_b32_e32 v52, 24, v22
	s_delay_alu instid0(VALU_DEP_2) | instskip(SKIP_1) | instid1(VALU_DEP_3)
	v_bfe_u32 v51, v50, 20, 1
	v_cmp_gt_u32_e64 s16, 0x43e80000, v50
	v_and_b32_e32 v52, 0x80, v52
	s_delay_alu instid0(VALU_DEP_3) | instskip(NEXT) | instid1(VALU_DEP_1)
	v_add3_u32 v51, v50, v51, 0x7ffff
	v_and_b32_e32 v51, 0xfff00000, v51
	s_delay_alu instid0(VALU_DEP_1) | instskip(NEXT) | instid1(VALU_DEP_1)
	v_max_u32_e32 v51, 0x3c800000, v51
	v_add_nc_u32_e32 v51, 0x4000000, v51
	s_delay_alu instid0(VALU_DEP_1) | instskip(NEXT) | instid1(VALU_DEP_1)
	v_lshrrev_b32_e32 v51, 20, v51
	v_cndmask_b32_e64 v51, 0x7e, v51, s16
	v_cmp_lt_u32_e64 s16, 0x3c6fffff, v50
	s_delay_alu instid0(VALU_DEP_1) | instskip(SKIP_1) | instid1(VALU_DEP_1)
	v_cndmask_b32_e64 v51, 7, v51, s16
	v_cmp_lt_u32_e64 s16, 0x3c500000, v50
	v_cndmask_b32_e64 v51, 6, v51, s16
	v_cmp_lt_u32_e64 s16, 0x3c2fffff, v50
	s_delay_alu instid0(VALU_DEP_1) | instskip(SKIP_1) | instid1(VALU_DEP_1)
	v_cndmask_b32_e64 v51, 5, v51, s16
	v_cmp_lt_u32_e64 s16, 0x3c100000, v50
	v_cndmask_b32_e64 v51, 4, v51, s16
	v_cmp_lt_u32_e64 s16, 0x3bdfffff, v50
	s_delay_alu instid0(VALU_DEP_1) | instskip(SKIP_1) | instid1(VALU_DEP_1)
	v_cndmask_b32_e64 v51, 3, v51, s16
	v_cmp_lt_u32_e64 s16, 0x3ba00000, v50
	v_cndmask_b32_e64 v51, 2, v51, s16
	v_cmp_lt_u32_e64 s16, 0x3b3fffff, v50
	s_delay_alu instid0(VALU_DEP_1) | instskip(SKIP_1) | instid1(VALU_DEP_1)
	v_cndmask_b32_e64 v51, 1, v51, s16
	v_cmp_lt_u32_e64 s16, 0x3a800000, v50
	v_cndmask_b32_e64 v50, 0, v51, s16
	v_cmp_o_f32_e64 s16, v22, v22
	s_delay_alu instid0(VALU_DEP_1) | instskip(SKIP_1) | instid1(VALU_DEP_1)
	v_cndmask_b32_e64 v22, 0x7f, v50, s16
	.loc	1 68 56                         ; persistent_matmul.py:68:56
	v_add_co_u32 v50, s16, v44, v21
	v_add_co_ci_u32_e64 v51, null, v45, v49, s16
	s_delay_alu instid0(VALU_DEP_3)
	.loc	1 71 31                         ; persistent_matmul.py:71:31
	v_or_b32_e32 v22, v22, v52
	.loc	1 74 25                         ; persistent_matmul.py:74:25
	global_store_b8 v[50:51], v22, off
.LBB0_235:
	.loc	1 0 25 is_stmt 0                ; persistent_matmul.py:0:25
	s_or_b32 exec_lo, exec_lo, s25
	.loc	1 67 41 is_stmt 1               ; persistent_matmul.py:67:41
	v_or_b32_e32 v50, s24, v82
	s_delay_alu instid0(VALU_DEP_1)
	.loc	1 68 68                         ; persistent_matmul.py:68:68
	v_mul_lo_u32 v22, v50, s19
	.loc	1 69 62                         ; persistent_matmul.py:69:62
	v_cmp_gt_i32_e64 s16, s23, v50
	.loc	1 69 43 is_stmt 0               ; persistent_matmul.py:69:43
	s_and_b32 s10, s10, s16
	.loc	1 68 56 is_stmt 1               ; persistent_matmul.py:68:56
	v_ashrrev_i32_e32 v50, 31, v22
	.loc	1 74 25                         ; persistent_matmul.py:74:25
	s_and_saveexec_b32 s24, s10
	s_cbranch_execz .LBB0_237
; %bb.236:
	.loc	1 71 31                         ; persistent_matmul.py:71:31
	v_and_b32_e32 v51, 0x7fffffff, v23
	v_lshrrev_b32_e32 v53, 24, v23
	s_delay_alu instid0(VALU_DEP_2) | instskip(SKIP_1) | instid1(VALU_DEP_2)
	v_bfe_u32 v52, v51, 20, 1
	v_cmp_gt_u32_e64 s10, 0x43e80000, v51
	v_add3_u32 v52, v51, v52, 0x7ffff
	s_delay_alu instid0(VALU_DEP_1) | instskip(NEXT) | instid1(VALU_DEP_1)
	v_and_b32_e32 v52, 0xfff00000, v52
	v_max_u32_e32 v52, 0x3c800000, v52
	s_delay_alu instid0(VALU_DEP_1) | instskip(NEXT) | instid1(VALU_DEP_1)
	v_add_nc_u32_e32 v52, 0x4000000, v52
	v_lshrrev_b32_e32 v52, 20, v52
	s_delay_alu instid0(VALU_DEP_1) | instskip(SKIP_1) | instid1(VALU_DEP_1)
	v_cndmask_b32_e64 v52, 0x7e, v52, s10
	v_cmp_lt_u32_e64 s10, 0x3c6fffff, v51
	v_cndmask_b32_e64 v52, 7, v52, s10
	v_cmp_lt_u32_e64 s10, 0x3c500000, v51
	s_delay_alu instid0(VALU_DEP_1) | instskip(SKIP_1) | instid1(VALU_DEP_1)
	v_cndmask_b32_e64 v52, 6, v52, s10
	v_cmp_lt_u32_e64 s10, 0x3c2fffff, v51
	v_cndmask_b32_e64 v52, 5, v52, s10
	v_cmp_lt_u32_e64 s10, 0x3c100000, v51
	;; [unrolled: 5-line block ×4, first 2 shown]
	s_delay_alu instid0(VALU_DEP_1) | instskip(SKIP_2) | instid1(VALU_DEP_2)
	v_cndmask_b32_e64 v51, 0, v52, s10
	v_cmp_o_f32_e64 s10, v23, v23
	v_and_b32_e32 v52, 0x80, v53
	v_cndmask_b32_e64 v23, 0x7f, v51, s10
	.loc	1 68 56                         ; persistent_matmul.py:68:56
	v_add_co_u32 v44, s10, v44, v22
	s_delay_alu instid0(VALU_DEP_1) | instskip(NEXT) | instid1(VALU_DEP_3)
	v_add_co_ci_u32_e64 v45, null, v45, v50, s10
	.loc	1 71 31                         ; persistent_matmul.py:71:31
	v_or_b32_e32 v23, v23, v52
	.loc	1 74 25                         ; persistent_matmul.py:74:25
	global_store_b8 v[44:45], v23, off
.LBB0_237:
	.loc	1 0 25 is_stmt 0                ; persistent_matmul.py:0:25
	s_or_b32 exec_lo, exec_lo, s24
	.loc	1 66 41 is_stmt 1               ; persistent_matmul.py:66:41
	v_or_b32_e32 v23, s17, v67
	s_delay_alu instid0(VALU_DEP_1) | instskip(SKIP_4) | instid1(VALU_DEP_1)
	.loc	1 68 37                         ; persistent_matmul.py:68:37
	v_mul_lo_u32 v44, v23, s18
	.loc	1 69 37                         ; persistent_matmul.py:69:37
	v_cmp_gt_i32_e64 s10, s22, v23
	.loc	1 69 43 is_stmt 0               ; persistent_matmul.py:69:43
	s_and_b32 s24, s10, vcc_lo
	.loc	1 68 25 is_stmt 1               ; persistent_matmul.py:68:25
	v_ashrrev_i32_e32 v45, 31, v44
	v_add_co_u32 v23, s17, s20, v44
	v_add_co_ci_u32_e64 v44, null, s21, v45, s17
	.loc	1 74 25                         ; persistent_matmul.py:74:25
	s_and_saveexec_b32 s17, s24
	s_cbranch_execnz .LBB0_325
; %bb.238:
	.loc	1 0 25 is_stmt 0                ; persistent_matmul.py:0:25
	s_or_b32 exec_lo, exec_lo, s17
	.loc	1 69 43 is_stmt 1               ; persistent_matmul.py:69:43
	s_and_b32 s17, s10, s0
	s_delay_alu instid0(SALU_CYCLE_1)
	.loc	1 74 25                         ; persistent_matmul.py:74:25
	s_and_saveexec_b32 s0, s17
	s_cbranch_execnz .LBB0_326
.LBB0_239:
	.loc	1 0 25 is_stmt 0                ; persistent_matmul.py:0:25
	s_or_b32 exec_lo, exec_lo, s0
	.loc	1 69 43 is_stmt 1               ; persistent_matmul.py:69:43
	s_and_b32 s1, s10, s1
	s_delay_alu instid0(SALU_CYCLE_1)
	.loc	1 74 25                         ; persistent_matmul.py:74:25
	s_and_saveexec_b32 s0, s1
	s_cbranch_execnz .LBB0_327
.LBB0_240:
	.loc	1 0 25 is_stmt 0                ; persistent_matmul.py:0:25
	s_or_b32 exec_lo, exec_lo, s0
	.loc	1 69 43 is_stmt 1               ; persistent_matmul.py:69:43
	s_and_b32 s1, s10, s2
	s_delay_alu instid0(SALU_CYCLE_1)
	.loc	1 74 25                         ; persistent_matmul.py:74:25
	s_and_saveexec_b32 s0, s1
	s_cbranch_execnz .LBB0_328
.LBB0_241:
	.loc	1 0 25 is_stmt 0                ; persistent_matmul.py:0:25
	s_or_b32 exec_lo, exec_lo, s0
	.loc	1 69 43 is_stmt 1               ; persistent_matmul.py:69:43
	s_and_b32 s1, s10, s3
	s_delay_alu instid0(SALU_CYCLE_1)
	.loc	1 74 25                         ; persistent_matmul.py:74:25
	s_and_saveexec_b32 s0, s1
	s_cbranch_execnz .LBB0_329
.LBB0_242:
	.loc	1 0 25 is_stmt 0                ; persistent_matmul.py:0:25
	s_or_b32 exec_lo, exec_lo, s0
	.loc	1 69 43 is_stmt 1               ; persistent_matmul.py:69:43
	s_and_b32 s1, s10, s4
	s_delay_alu instid0(SALU_CYCLE_1)
	.loc	1 74 25                         ; persistent_matmul.py:74:25
	s_and_saveexec_b32 s0, s1
	s_cbranch_execnz .LBB0_330
.LBB0_243:
	.loc	1 0 25 is_stmt 0                ; persistent_matmul.py:0:25
	s_or_b32 exec_lo, exec_lo, s0
	.loc	1 69 43 is_stmt 1               ; persistent_matmul.py:69:43
	s_and_b32 s1, s10, s5
	s_delay_alu instid0(SALU_CYCLE_1)
	.loc	1 74 25                         ; persistent_matmul.py:74:25
	s_and_saveexec_b32 s0, s1
	s_cbranch_execnz .LBB0_331
.LBB0_244:
	.loc	1 0 25 is_stmt 0                ; persistent_matmul.py:0:25
	s_or_b32 exec_lo, exec_lo, s0
	.loc	1 69 43 is_stmt 1               ; persistent_matmul.py:69:43
	s_and_b32 s1, s10, s6
	s_delay_alu instid0(SALU_CYCLE_1)
	.loc	1 74 25                         ; persistent_matmul.py:74:25
	s_and_saveexec_b32 s0, s1
	s_cbranch_execnz .LBB0_332
.LBB0_245:
	.loc	1 0 25 is_stmt 0                ; persistent_matmul.py:0:25
	s_or_b32 exec_lo, exec_lo, s0
	.loc	1 69 43 is_stmt 1               ; persistent_matmul.py:69:43
	s_and_b32 s1, s10, s7
	s_delay_alu instid0(SALU_CYCLE_1)
	.loc	1 74 25                         ; persistent_matmul.py:74:25
	s_and_saveexec_b32 s0, s1
	s_cbranch_execnz .LBB0_333
.LBB0_246:
	.loc	1 0 25 is_stmt 0                ; persistent_matmul.py:0:25
	s_or_b32 exec_lo, exec_lo, s0
	.loc	1 69 43 is_stmt 1               ; persistent_matmul.py:69:43
	s_and_b32 s1, s10, s8
	s_delay_alu instid0(SALU_CYCLE_1)
	.loc	1 74 25                         ; persistent_matmul.py:74:25
	s_and_saveexec_b32 s0, s1
	s_cbranch_execnz .LBB0_334
.LBB0_247:
	.loc	1 0 25 is_stmt 0                ; persistent_matmul.py:0:25
	s_or_b32 exec_lo, exec_lo, s0
	.loc	1 69 43 is_stmt 1               ; persistent_matmul.py:69:43
	s_and_b32 s1, s10, s9
	s_delay_alu instid0(SALU_CYCLE_1)
	.loc	1 74 25                         ; persistent_matmul.py:74:25
	s_and_saveexec_b32 s0, s1
	s_cbranch_execnz .LBB0_335
.LBB0_248:
	.loc	1 0 25 is_stmt 0                ; persistent_matmul.py:0:25
	s_or_b32 exec_lo, exec_lo, s0
	.loc	1 69 43 is_stmt 1               ; persistent_matmul.py:69:43
	s_and_b32 s1, s10, s11
	s_delay_alu instid0(SALU_CYCLE_1)
	.loc	1 74 25                         ; persistent_matmul.py:74:25
	s_and_saveexec_b32 s0, s1
	s_cbranch_execnz .LBB0_336
.LBB0_249:
	.loc	1 0 25 is_stmt 0                ; persistent_matmul.py:0:25
	s_or_b32 exec_lo, exec_lo, s0
	.loc	1 69 43 is_stmt 1               ; persistent_matmul.py:69:43
	s_and_b32 s1, s10, s12
	s_delay_alu instid0(SALU_CYCLE_1)
	.loc	1 74 25                         ; persistent_matmul.py:74:25
	s_and_saveexec_b32 s0, s1
	s_cbranch_execnz .LBB0_337
.LBB0_250:
	.loc	1 0 25 is_stmt 0                ; persistent_matmul.py:0:25
	s_or_b32 exec_lo, exec_lo, s0
	.loc	1 69 43 is_stmt 1               ; persistent_matmul.py:69:43
	s_and_b32 s1, s10, s13
	s_delay_alu instid0(SALU_CYCLE_1)
	.loc	1 74 25                         ; persistent_matmul.py:74:25
	s_and_saveexec_b32 s0, s1
	s_cbranch_execnz .LBB0_338
.LBB0_251:
	.loc	1 0 25 is_stmt 0                ; persistent_matmul.py:0:25
	s_or_b32 exec_lo, exec_lo, s0
	.loc	1 69 43 is_stmt 1               ; persistent_matmul.py:69:43
	s_and_b32 s1, s10, s14
	s_delay_alu instid0(SALU_CYCLE_1)
	.loc	1 74 25                         ; persistent_matmul.py:74:25
	s_and_saveexec_b32 s0, s1
	s_cbranch_execnz .LBB0_339
.LBB0_252:
	.loc	1 0 25 is_stmt 0                ; persistent_matmul.py:0:25
	s_or_b32 exec_lo, exec_lo, s0
	.loc	1 69 43 is_stmt 1               ; persistent_matmul.py:69:43
	s_and_b32 s1, s10, s16
	s_delay_alu instid0(SALU_CYCLE_1)
	.loc	1 74 25                         ; persistent_matmul.py:74:25
	s_and_saveexec_b32 s0, s1
	s_cbranch_execz .LBB0_254
.LBB0_253:
	.loc	1 71 31                         ; persistent_matmul.py:71:31
	v_and_b32_e32 v0, 0x7fffffff, v7
	v_lshrrev_b32_e32 v2, 24, v7
	s_delay_alu instid0(VALU_DEP_2) | instskip(SKIP_1) | instid1(VALU_DEP_3)
	v_bfe_u32 v1, v0, 20, 1
	v_cmp_gt_u32_e32 vcc_lo, 0x43e80000, v0
	v_and_b32_e32 v2, 0x80, v2
	s_delay_alu instid0(VALU_DEP_3) | instskip(NEXT) | instid1(VALU_DEP_1)
	v_add3_u32 v1, v0, v1, 0x7ffff
	v_and_b32_e32 v1, 0xfff00000, v1
	s_delay_alu instid0(VALU_DEP_1) | instskip(NEXT) | instid1(VALU_DEP_1)
	v_max_u32_e32 v1, 0x3c800000, v1
	v_add_nc_u32_e32 v1, 0x4000000, v1
	s_delay_alu instid0(VALU_DEP_1) | instskip(NEXT) | instid1(VALU_DEP_1)
	v_lshrrev_b32_e32 v1, 20, v1
	v_cndmask_b32_e32 v1, 0x7e, v1, vcc_lo
	v_cmp_lt_u32_e32 vcc_lo, 0x3c6fffff, v0
	s_delay_alu instid0(VALU_DEP_2) | instskip(SKIP_1) | instid1(VALU_DEP_2)
	v_cndmask_b32_e32 v1, 7, v1, vcc_lo
	v_cmp_lt_u32_e32 vcc_lo, 0x3c500000, v0
	v_cndmask_b32_e32 v1, 6, v1, vcc_lo
	v_cmp_lt_u32_e32 vcc_lo, 0x3c2fffff, v0
	s_delay_alu instid0(VALU_DEP_2) | instskip(SKIP_1) | instid1(VALU_DEP_2)
	v_cndmask_b32_e32 v1, 5, v1, vcc_lo
	v_cmp_lt_u32_e32 vcc_lo, 0x3c100000, v0
	;; [unrolled: 5-line block ×4, first 2 shown]
	v_cndmask_b32_e32 v0, 0, v1, vcc_lo
	v_cmp_o_f32_e32 vcc_lo, v7, v7
	s_delay_alu instid0(VALU_DEP_2) | instskip(SKIP_1) | instid1(VALU_DEP_1)
	v_cndmask_b32_e32 v3, 0x7f, v0, vcc_lo
	.loc	1 68 56                         ; persistent_matmul.py:68:56
	v_add_co_u32 v0, vcc_lo, v23, v22
	v_add_co_ci_u32_e64 v1, null, v44, v50, vcc_lo
	s_delay_alu instid0(VALU_DEP_3)
	.loc	1 71 31                         ; persistent_matmul.py:71:31
	v_or_b32_e32 v2, v3, v2
	.loc	1 74 25                         ; persistent_matmul.py:74:25
	global_store_b8 v[0:1], v2, off
.LBB0_254:                              ; %Flow
	.loc	1 0 25 is_stmt 0                ; persistent_matmul.py:0:25
	s_or_b32 exec_lo, exec_lo, s0
.LBB0_255:                              ; %Flow174
	s_mov_b32 s2, 0
.LBB0_256:                              ; %Flow180
	s_delay_alu instid0(SALU_CYCLE_1)
	s_and_b32 vcc_lo, exec_lo, s2
	s_cbranch_vccz .LBB0_324
; %bb.257:                              ; %.preheader
	.loc	1 43 59 is_stmt 1               ; persistent_matmul.py:43:59
	s_cmp_le_i32 s31, s15
	s_cbranch_scc1 .LBB0_324
; %bb.258:                              ; %.lr.ph10.preheader
	.loc	1 0 59 is_stmt 0                ; persistent_matmul.py:0:59
	s_abs_i32 s24, s33
	s_ashr_i32 s25, s33, 31
	v_cvt_f32_u32_e32 v0, s24
	s_sub_i32 s1, 0, s24
.Ltmp53:
	.loc	1 14 44 is_stmt 1               ; persistent_matmul.py:14:44 @[ persistent_matmul.py:65:90 ]
	s_sub_i32 s27, 0, s33
	s_delay_alu instid0(VALU_DEP_1) | instskip(SKIP_2) | instid1(VALU_DEP_1)
	v_rcp_iflag_f32_e32 v0, v0
	s_waitcnt_depctr depctr_va_vdst(0)
	v_mul_f32_e32 v0, 0x4f7ffffe, v0
	v_cvt_u32_f32_e32 v0, v0
	s_delay_alu instid0(VALU_DEP_1) | instskip(SKIP_2) | instid1(SALU_CYCLE_1)
	v_readfirstlane_b32 s0, v0
	v_mov_b32_e32 v0, 0
	s_mul_i32 s1, s1, s0
	s_mul_hi_u32 s1, s0, s1
	s_delay_alu instid0(SALU_CYCLE_1)
	s_add_i32 s26, s0, s1
	s_branch .LBB0_260
.Ltmp54:
.LBB0_259:                              ;   in Loop: Header=BB0_260 Depth=1
	.loc	1 0 44 is_stmt 0                ; persistent_matmul.py:0:44
	s_or_b32 exec_lo, exec_lo, s0
	.loc	1 43 59 is_stmt 1               ; persistent_matmul.py:43:59
	s_addk_i32 s15, 0x130
	s_delay_alu instid0(SALU_CYCLE_1)
	s_cmp_ge_i32 s15, s31
	s_cbranch_scc1 .LBB0_324
.LBB0_260:                              ; %.lr.ph10
                                        ; =>This Inner Loop Header: Depth=1
.Ltmp55:
	.loc	1 10 26                         ; persistent_matmul.py:10:26 @[ persistent_matmul.py:65:90 ]
	s_abs_i32 s0, s15
	s_ashr_i32 s2, s15, 31
	s_mul_hi_u32 s1, s0, s26
	s_xor_b32 s4, s2, s25
	s_mul_i32 s3, s1, s24
	s_add_i32 s5, s1, 1
	s_sub_i32 s3, s0, s3
	s_delay_alu instid0(SALU_CYCLE_1)
	s_sub_i32 s6, s3, s24
	s_cmp_ge_u32 s3, s24
	s_cselect_b32 s1, s5, s1
	s_cselect_b32 s3, s6, s3
	s_add_i32 s5, s1, 1
	s_cmp_ge_u32 s3, s24
	s_cselect_b32 s1, s5, s1
	s_delay_alu instid0(SALU_CYCLE_1) | instskip(NEXT) | instid1(SALU_CYCLE_1)
	s_xor_b32 s1, s1, s4
	s_sub_i32 s1, s1, s4
	s_delay_alu instid0(SALU_CYCLE_1) | instskip(SKIP_4) | instid1(SALU_CYCLE_1)
	.loc	1 11 29                         ; persistent_matmul.py:11:29 @[ persistent_matmul.py:65:90 ]
	s_lshl_b32 s3, s1, 3
	.loc	1 14 44                         ; persistent_matmul.py:14:44 @[ persistent_matmul.py:65:90 ]
	s_mul_i32 s8, s27, s1
	.loc	1 12 35                         ; persistent_matmul.py:12:35 @[ persistent_matmul.py:65:90 ]
	s_sub_i32 s4, s30, s3
	.loc	1 14 23                         ; persistent_matmul.py:14:23 @[ persistent_matmul.py:65:90 ]
	s_mul_i32 s1, s1, s33
	.loc	1 12 48                         ; persistent_matmul.py:12:48 @[ persistent_matmul.py:65:90 ]
	s_min_i32 s4, s4, 8
	.loc	1 13 37                         ; persistent_matmul.py:13:37 @[ persistent_matmul.py:65:90 ]
	s_abs_i32 s5, s4
	s_ashr_i32 s4, s4, 31
	v_cvt_f32_u32_e32 v1, s5
	s_sub_i32 s7, 0, s5
	s_delay_alu instid0(VALU_DEP_1) | instskip(SKIP_2) | instid1(VALU_DEP_1)
	v_rcp_iflag_f32_e32 v1, v1
	s_waitcnt_depctr depctr_va_vdst(0)
	v_mul_f32_e32 v1, 0x4f7ffffe, v1
	v_cvt_u32_f32_e32 v1, v1
	s_delay_alu instid0(VALU_DEP_1) | instskip(SKIP_1) | instid1(SALU_CYCLE_1)
	v_readfirstlane_b32 s6, v1
	s_mul_i32 s7, s7, s6
	s_mul_hi_u32 s7, s6, s7
	s_delay_alu instid0(SALU_CYCLE_1) | instskip(NEXT) | instid1(SALU_CYCLE_1)
	s_add_i32 s6, s6, s7
	s_mul_hi_u32 s7, s0, s6
	s_delay_alu instid0(SALU_CYCLE_1) | instskip(NEXT) | instid1(SALU_CYCLE_1)
	s_mul_i32 s7, s7, s5
	s_sub_i32 s0, s0, s7
	s_delay_alu instid0(SALU_CYCLE_1) | instskip(SKIP_2) | instid1(SALU_CYCLE_1)
	s_sub_i32 s7, s0, s5
	s_cmp_ge_u32 s0, s5
	s_cselect_b32 s0, s7, s0
	s_sub_i32 s7, s0, s5
	s_cmp_ge_u32 s0, s5
	s_cselect_b32 s0, s7, s0
	.loc	1 14 44                         ; persistent_matmul.py:14:44 @[ persistent_matmul.py:65:90 ]
	s_add_i32 s7, s15, s8
	.loc	1 13 37                         ; persistent_matmul.py:13:37 @[ persistent_matmul.py:65:90 ]
	s_xor_b32 s0, s0, s2
	.loc	1 14 44                         ; persistent_matmul.py:14:44 @[ persistent_matmul.py:65:90 ]
	s_ashr_i32 s7, s7, 31
	.loc	1 13 37                         ; persistent_matmul.py:13:37 @[ persistent_matmul.py:65:90 ]
	s_sub_i32 s0, s0, s2
	.loc	1 14 44                         ; persistent_matmul.py:14:44 @[ persistent_matmul.py:65:90 ]
	s_sub_i32 s1, s7, s1
	.loc	1 13 27                         ; persistent_matmul.py:13:27 @[ persistent_matmul.py:65:90 ]
	s_add_i32 s3, s3, s0
	.loc	1 14 44                         ; persistent_matmul.py:14:44 @[ persistent_matmul.py:65:90 ]
	s_add_i32 s1, s15, s1
	s_xor_b32 s4, s7, s4
	s_xor_b32 s1, s1, s7
	s_delay_alu instid0(SALU_CYCLE_1) | instskip(NEXT) | instid1(SALU_CYCLE_1)
	s_mul_hi_u32 s2, s1, s6
	s_mul_i32 s6, s2, s5
	s_delay_alu instid0(SALU_CYCLE_1)
	s_sub_i32 s0, s1, s6
	s_add_i32 s1, s2, 1
	s_sub_i32 s6, s0, s5
	s_cmp_ge_u32 s0, s5
	s_cselect_b32 s1, s1, s2
	s_cselect_b32 s0, s6, s0
	s_add_i32 s2, s1, 1
	s_cmp_ge_u32 s0, s5
	s_cselect_b32 s0, s2, s1
.Ltmp56:
	.loc	1 66 26                         ; persistent_matmul.py:66:26
	s_lshl_b32 s17, s3, 6
.Ltmp57:
	.loc	1 14 44                         ; persistent_matmul.py:14:44 @[ persistent_matmul.py:65:90 ]
	s_xor_b32 s0, s0, s4
.Ltmp58:
	.loc	1 66 41                         ; persistent_matmul.py:66:41
	v_or_b32_e32 v2, s17, v65
.Ltmp59:
	.loc	1 14 44                         ; persistent_matmul.py:14:44 @[ persistent_matmul.py:65:90 ]
	s_sub_i32 s0, s0, s4
	s_delay_alu instid0(SALU_CYCLE_1) | instskip(NEXT) | instid1(VALU_DEP_1)
.Ltmp60:
	.loc	1 67 26                         ; persistent_matmul.py:67:26
	s_lshl_b32 s28, s0, 6
	.loc	1 68 37                         ; persistent_matmul.py:68:37
	v_mul_lo_u32 v3, v2, s18
	.loc	1 67 41                         ; persistent_matmul.py:67:41
	v_or_b32_e32 v4, s28, v66
	.loc	1 69 37                         ; persistent_matmul.py:69:37
	v_cmp_gt_i32_e64 s3, s22, v2
	s_delay_alu instid0(VALU_DEP_2) | instskip(SKIP_3) | instid1(VALU_DEP_1)
	.loc	1 68 68                         ; persistent_matmul.py:68:68
	v_mul_lo_u32 v1, v4, s19
	.loc	1 69 62                         ; persistent_matmul.py:69:62
	v_cmp_gt_i32_e32 vcc_lo, s23, v4
	.loc	1 68 25                         ; persistent_matmul.py:68:25
	v_ashrrev_i32_e32 v5, 31, v3
	v_add_co_u32 v11, s0, s20, v3
	v_add_co_ci_u32_e64 v12, null, s21, v5, s0
	.loc	1 68 56 is_stmt 0               ; persistent_matmul.py:68:56
	v_ashrrev_i32_e32 v2, 31, v1
	.loc	1 69 43 is_stmt 1               ; persistent_matmul.py:69:43
	s_and_b32 s0, s3, vcc_lo
	s_delay_alu instid0(SALU_CYCLE_1)
	.loc	1 74 25                         ; persistent_matmul.py:74:25
	s_and_saveexec_b32 s1, s0
	s_cbranch_execz .LBB0_262
; %bb.261:                              ;   in Loop: Header=BB0_260 Depth=1
	.loc	1 0 25 is_stmt 0                ; persistent_matmul.py:0:25
	v_add_co_u32 v3, s0, v11, v1
	s_delay_alu instid0(VALU_DEP_1)
	v_add_co_ci_u32_e64 v4, null, v12, v2, s0
	.loc	1 74 25                         ; persistent_matmul.py:74:25
	global_store_b8 v[3:4], v0, off
.LBB0_262:                              ;   in Loop: Header=BB0_260 Depth=1
	.loc	1 0 25                          ; persistent_matmul.py:0:25
	s_or_b32 exec_lo, exec_lo, s1
	.loc	1 67 41 is_stmt 1               ; persistent_matmul.py:67:41
	v_or_b32_e32 v4, s28, v68
	s_delay_alu instid0(VALU_DEP_1)
	.loc	1 68 68                         ; persistent_matmul.py:68:68
	v_mul_lo_u32 v3, v4, s19
	.loc	1 69 62                         ; persistent_matmul.py:69:62
	v_cmp_gt_i32_e64 s0, s23, v4
	.loc	1 69 43 is_stmt 0               ; persistent_matmul.py:69:43
	s_and_b32 s1, s3, s0
	.loc	1 68 56 is_stmt 1               ; persistent_matmul.py:68:56
	v_ashrrev_i32_e32 v4, 31, v3
	.loc	1 74 25                         ; persistent_matmul.py:74:25
	s_and_saveexec_b32 s2, s1
	s_cbranch_execz .LBB0_264
; %bb.263:                              ;   in Loop: Header=BB0_260 Depth=1
	.loc	1 68 56                         ; persistent_matmul.py:68:56
	v_add_co_u32 v5, s1, v11, v3
	s_delay_alu instid0(VALU_DEP_1)
	v_add_co_ci_u32_e64 v6, null, v12, v4, s1
	.loc	1 74 25                         ; persistent_matmul.py:74:25
	global_store_b8 v[5:6], v0, off
.LBB0_264:                              ;   in Loop: Header=BB0_260 Depth=1
	.loc	1 0 25 is_stmt 0                ; persistent_matmul.py:0:25
	s_or_b32 exec_lo, exec_lo, s2
	.loc	1 67 41 is_stmt 1               ; persistent_matmul.py:67:41
	v_or_b32_e32 v6, s28, v69
	s_delay_alu instid0(VALU_DEP_1)
	.loc	1 68 68                         ; persistent_matmul.py:68:68
	v_mul_lo_u32 v5, v6, s19
	.loc	1 69 62                         ; persistent_matmul.py:69:62
	v_cmp_gt_i32_e64 s1, s23, v6
	.loc	1 69 43 is_stmt 0               ; persistent_matmul.py:69:43
	s_and_b32 s2, s3, s1
	.loc	1 68 56 is_stmt 1               ; persistent_matmul.py:68:56
	v_ashrrev_i32_e32 v6, 31, v5
	.loc	1 74 25                         ; persistent_matmul.py:74:25
	s_and_saveexec_b32 s4, s2
	s_cbranch_execz .LBB0_266
; %bb.265:                              ;   in Loop: Header=BB0_260 Depth=1
	.loc	1 68 56                         ; persistent_matmul.py:68:56
	v_add_co_u32 v7, s2, v11, v5
	s_delay_alu instid0(VALU_DEP_1)
	v_add_co_ci_u32_e64 v8, null, v12, v6, s2
	.loc	1 74 25                         ; persistent_matmul.py:74:25
	global_store_b8 v[7:8], v0, off
.LBB0_266:                              ;   in Loop: Header=BB0_260 Depth=1
	.loc	1 0 25 is_stmt 0                ; persistent_matmul.py:0:25
	;; [unrolled: 24-line block ×15, first 2 shown]
	s_or_b32 exec_lo, exec_lo, s28
	.loc	1 66 41 is_stmt 1               ; persistent_matmul.py:66:41
	v_or_b32_e32 v11, s17, v67
	s_delay_alu instid0(VALU_DEP_1) | instskip(SKIP_4) | instid1(VALU_DEP_1)
	.loc	1 68 37                         ; persistent_matmul.py:68:37
	v_mul_lo_u32 v12, v11, s18
	.loc	1 69 37                         ; persistent_matmul.py:69:37
	v_cmp_gt_i32_e64 s3, s22, v11
	.loc	1 69 43 is_stmt 0               ; persistent_matmul.py:69:43
	s_and_b32 s28, s3, vcc_lo
	.loc	1 68 25 is_stmt 1               ; persistent_matmul.py:68:25
	v_ashrrev_i32_e32 v35, 31, v12
	v_add_co_u32 v11, s17, s20, v12
	v_add_co_ci_u32_e64 v12, null, s21, v35, s17
	.loc	1 74 25                         ; persistent_matmul.py:74:25
	s_and_saveexec_b32 s17, s28
	s_cbranch_execnz .LBB0_308
; %bb.293:                              ;   in Loop: Header=BB0_260 Depth=1
	.loc	1 0 25 is_stmt 0                ; persistent_matmul.py:0:25
	s_or_b32 exec_lo, exec_lo, s17
	.loc	1 69 43 is_stmt 1               ; persistent_matmul.py:69:43
	s_and_b32 s17, s3, s0
	s_delay_alu instid0(SALU_CYCLE_1)
	.loc	1 74 25                         ; persistent_matmul.py:74:25
	s_and_saveexec_b32 s0, s17
	s_cbranch_execnz .LBB0_309
.LBB0_294:                              ;   in Loop: Header=BB0_260 Depth=1
	.loc	1 0 25 is_stmt 0                ; persistent_matmul.py:0:25
	s_or_b32 exec_lo, exec_lo, s0
	.loc	1 69 43 is_stmt 1               ; persistent_matmul.py:69:43
	s_and_b32 s1, s3, s1
	s_delay_alu instid0(SALU_CYCLE_1)
	.loc	1 74 25                         ; persistent_matmul.py:74:25
	s_and_saveexec_b32 s0, s1
	s_cbranch_execnz .LBB0_310
.LBB0_295:                              ;   in Loop: Header=BB0_260 Depth=1
	.loc	1 0 25 is_stmt 0                ; persistent_matmul.py:0:25
	s_or_b32 exec_lo, exec_lo, s0
	.loc	1 69 43 is_stmt 1               ; persistent_matmul.py:69:43
	s_and_b32 s1, s3, s2
	s_delay_alu instid0(SALU_CYCLE_1)
	.loc	1 74 25                         ; persistent_matmul.py:74:25
	s_and_saveexec_b32 s0, s1
	s_cbranch_execnz .LBB0_311
.LBB0_296:                              ;   in Loop: Header=BB0_260 Depth=1
	.loc	1 0 25 is_stmt 0                ; persistent_matmul.py:0:25
	s_or_b32 exec_lo, exec_lo, s0
	.loc	1 69 43 is_stmt 1               ; persistent_matmul.py:69:43
	s_and_b32 s1, s3, s4
	s_delay_alu instid0(SALU_CYCLE_1)
	.loc	1 74 25                         ; persistent_matmul.py:74:25
	s_and_saveexec_b32 s0, s1
	s_cbranch_execnz .LBB0_312
.LBB0_297:                              ;   in Loop: Header=BB0_260 Depth=1
	.loc	1 0 25 is_stmt 0                ; persistent_matmul.py:0:25
	s_or_b32 exec_lo, exec_lo, s0
	.loc	1 69 43 is_stmt 1               ; persistent_matmul.py:69:43
	s_and_b32 s1, s3, s5
	s_delay_alu instid0(SALU_CYCLE_1)
	.loc	1 74 25                         ; persistent_matmul.py:74:25
	s_and_saveexec_b32 s0, s1
	s_cbranch_execnz .LBB0_313
.LBB0_298:                              ;   in Loop: Header=BB0_260 Depth=1
	.loc	1 0 25 is_stmt 0                ; persistent_matmul.py:0:25
	s_or_b32 exec_lo, exec_lo, s0
	.loc	1 69 43 is_stmt 1               ; persistent_matmul.py:69:43
	s_and_b32 s1, s3, s6
	s_delay_alu instid0(SALU_CYCLE_1)
	.loc	1 74 25                         ; persistent_matmul.py:74:25
	s_and_saveexec_b32 s0, s1
	s_cbranch_execnz .LBB0_314
.LBB0_299:                              ;   in Loop: Header=BB0_260 Depth=1
	.loc	1 0 25 is_stmt 0                ; persistent_matmul.py:0:25
	s_or_b32 exec_lo, exec_lo, s0
	.loc	1 69 43 is_stmt 1               ; persistent_matmul.py:69:43
	s_and_b32 s1, s3, s7
	s_delay_alu instid0(SALU_CYCLE_1)
	.loc	1 74 25                         ; persistent_matmul.py:74:25
	s_and_saveexec_b32 s0, s1
	s_cbranch_execnz .LBB0_315
.LBB0_300:                              ;   in Loop: Header=BB0_260 Depth=1
	.loc	1 0 25 is_stmt 0                ; persistent_matmul.py:0:25
	s_or_b32 exec_lo, exec_lo, s0
	.loc	1 69 43 is_stmt 1               ; persistent_matmul.py:69:43
	s_and_b32 s1, s3, s8
	s_delay_alu instid0(SALU_CYCLE_1)
	.loc	1 74 25                         ; persistent_matmul.py:74:25
	s_and_saveexec_b32 s0, s1
	s_cbranch_execnz .LBB0_316
.LBB0_301:                              ;   in Loop: Header=BB0_260 Depth=1
	.loc	1 0 25 is_stmt 0                ; persistent_matmul.py:0:25
	s_or_b32 exec_lo, exec_lo, s0
	.loc	1 69 43 is_stmt 1               ; persistent_matmul.py:69:43
	s_and_b32 s1, s3, s9
	s_delay_alu instid0(SALU_CYCLE_1)
	.loc	1 74 25                         ; persistent_matmul.py:74:25
	s_and_saveexec_b32 s0, s1
	s_cbranch_execnz .LBB0_317
.LBB0_302:                              ;   in Loop: Header=BB0_260 Depth=1
	.loc	1 0 25 is_stmt 0                ; persistent_matmul.py:0:25
	s_or_b32 exec_lo, exec_lo, s0
	.loc	1 69 43 is_stmt 1               ; persistent_matmul.py:69:43
	s_and_b32 s1, s3, s10
	s_delay_alu instid0(SALU_CYCLE_1)
	.loc	1 74 25                         ; persistent_matmul.py:74:25
	s_and_saveexec_b32 s0, s1
	s_cbranch_execnz .LBB0_318
.LBB0_303:                              ;   in Loop: Header=BB0_260 Depth=1
	.loc	1 0 25 is_stmt 0                ; persistent_matmul.py:0:25
	s_or_b32 exec_lo, exec_lo, s0
	.loc	1 69 43 is_stmt 1               ; persistent_matmul.py:69:43
	s_and_b32 s1, s3, s11
	s_delay_alu instid0(SALU_CYCLE_1)
	.loc	1 74 25                         ; persistent_matmul.py:74:25
	s_and_saveexec_b32 s0, s1
	s_cbranch_execnz .LBB0_319
.LBB0_304:                              ;   in Loop: Header=BB0_260 Depth=1
	.loc	1 0 25 is_stmt 0                ; persistent_matmul.py:0:25
	s_or_b32 exec_lo, exec_lo, s0
	.loc	1 69 43 is_stmt 1               ; persistent_matmul.py:69:43
	s_and_b32 s1, s3, s12
	s_delay_alu instid0(SALU_CYCLE_1)
	.loc	1 74 25                         ; persistent_matmul.py:74:25
	s_and_saveexec_b32 s0, s1
	s_cbranch_execnz .LBB0_320
.LBB0_305:                              ;   in Loop: Header=BB0_260 Depth=1
	.loc	1 0 25 is_stmt 0                ; persistent_matmul.py:0:25
	s_or_b32 exec_lo, exec_lo, s0
	.loc	1 69 43 is_stmt 1               ; persistent_matmul.py:69:43
	s_and_b32 s1, s3, s13
	s_delay_alu instid0(SALU_CYCLE_1)
	.loc	1 74 25                         ; persistent_matmul.py:74:25
	s_and_saveexec_b32 s0, s1
	s_cbranch_execnz .LBB0_321
.LBB0_306:                              ;   in Loop: Header=BB0_260 Depth=1
	.loc	1 0 25 is_stmt 0                ; persistent_matmul.py:0:25
	s_or_b32 exec_lo, exec_lo, s0
	.loc	1 69 43 is_stmt 1               ; persistent_matmul.py:69:43
	s_and_b32 s1, s3, s14
	s_delay_alu instid0(SALU_CYCLE_1)
	.loc	1 74 25                         ; persistent_matmul.py:74:25
	s_and_saveexec_b32 s0, s1
	s_cbranch_execnz .LBB0_322
.LBB0_307:                              ;   in Loop: Header=BB0_260 Depth=1
	.loc	1 0 25 is_stmt 0                ; persistent_matmul.py:0:25
	s_or_b32 exec_lo, exec_lo, s0
	.loc	1 69 43 is_stmt 1               ; persistent_matmul.py:69:43
	s_and_b32 s1, s3, s16
	s_delay_alu instid0(SALU_CYCLE_1)
	.loc	1 74 25                         ; persistent_matmul.py:74:25
	s_and_saveexec_b32 s0, s1
	s_cbranch_execz .LBB0_259
	s_branch .LBB0_323
.LBB0_308:                              ;   in Loop: Header=BB0_260 Depth=1
	.loc	1 68 56                         ; persistent_matmul.py:68:56
	v_add_co_u32 v1, vcc_lo, v11, v1
	s_delay_alu instid0(VALU_DEP_1) | instskip(SKIP_3) | instid1(SALU_CYCLE_1)
	v_add_co_ci_u32_e64 v2, null, v12, v2, vcc_lo
	.loc	1 74 25                         ; persistent_matmul.py:74:25
	global_store_b8 v[1:2], v0, off
	s_or_b32 exec_lo, exec_lo, s17
	.loc	1 69 43                         ; persistent_matmul.py:69:43
	s_and_b32 s17, s3, s0
	.loc	1 74 25                         ; persistent_matmul.py:74:25
	s_and_saveexec_b32 s0, s17
	s_cbranch_execz .LBB0_294
.LBB0_309:                              ;   in Loop: Header=BB0_260 Depth=1
	.loc	1 68 56                         ; persistent_matmul.py:68:56
	v_add_co_u32 v1, vcc_lo, v11, v3
	s_delay_alu instid0(VALU_DEP_1) | instskip(SKIP_3) | instid1(SALU_CYCLE_1)
	v_add_co_ci_u32_e64 v2, null, v12, v4, vcc_lo
	.loc	1 74 25                         ; persistent_matmul.py:74:25
	global_store_b8 v[1:2], v0, off
	s_or_b32 exec_lo, exec_lo, s0
	.loc	1 69 43                         ; persistent_matmul.py:69:43
	s_and_b32 s1, s3, s1
	.loc	1 74 25                         ; persistent_matmul.py:74:25
	s_and_saveexec_b32 s0, s1
	s_cbranch_execz .LBB0_295
.LBB0_310:                              ;   in Loop: Header=BB0_260 Depth=1
	.loc	1 68 56                         ; persistent_matmul.py:68:56
	v_add_co_u32 v1, vcc_lo, v11, v5
	s_delay_alu instid0(VALU_DEP_1) | instskip(SKIP_3) | instid1(SALU_CYCLE_1)
	v_add_co_ci_u32_e64 v2, null, v12, v6, vcc_lo
	.loc	1 74 25                         ; persistent_matmul.py:74:25
	global_store_b8 v[1:2], v0, off
	s_or_b32 exec_lo, exec_lo, s0
	.loc	1 69 43                         ; persistent_matmul.py:69:43
	s_and_b32 s1, s3, s2
	.loc	1 74 25                         ; persistent_matmul.py:74:25
	s_and_saveexec_b32 s0, s1
	s_cbranch_execz .LBB0_296
.LBB0_311:                              ;   in Loop: Header=BB0_260 Depth=1
	.loc	1 68 56                         ; persistent_matmul.py:68:56
	v_add_co_u32 v1, vcc_lo, v11, v7
	s_delay_alu instid0(VALU_DEP_1) | instskip(SKIP_3) | instid1(SALU_CYCLE_1)
	v_add_co_ci_u32_e64 v2, null, v12, v8, vcc_lo
	.loc	1 74 25                         ; persistent_matmul.py:74:25
	global_store_b8 v[1:2], v0, off
	s_or_b32 exec_lo, exec_lo, s0
	.loc	1 69 43                         ; persistent_matmul.py:69:43
	s_and_b32 s1, s3, s4
	.loc	1 74 25                         ; persistent_matmul.py:74:25
	s_and_saveexec_b32 s0, s1
	s_cbranch_execz .LBB0_297
.LBB0_312:                              ;   in Loop: Header=BB0_260 Depth=1
	.loc	1 68 56                         ; persistent_matmul.py:68:56
	v_add_co_u32 v1, vcc_lo, v11, v9
	s_delay_alu instid0(VALU_DEP_1) | instskip(SKIP_3) | instid1(SALU_CYCLE_1)
	v_add_co_ci_u32_e64 v2, null, v12, v10, vcc_lo
	.loc	1 74 25                         ; persistent_matmul.py:74:25
	global_store_b8 v[1:2], v0, off
	s_or_b32 exec_lo, exec_lo, s0
	.loc	1 69 43                         ; persistent_matmul.py:69:43
	s_and_b32 s1, s3, s5
	.loc	1 74 25                         ; persistent_matmul.py:74:25
	s_and_saveexec_b32 s0, s1
	s_cbranch_execz .LBB0_298
.LBB0_313:                              ;   in Loop: Header=BB0_260 Depth=1
	.loc	1 68 56                         ; persistent_matmul.py:68:56
	v_add_co_u32 v1, vcc_lo, v11, v13
	s_delay_alu instid0(VALU_DEP_1) | instskip(SKIP_3) | instid1(SALU_CYCLE_1)
	v_add_co_ci_u32_e64 v2, null, v12, v14, vcc_lo
	.loc	1 74 25                         ; persistent_matmul.py:74:25
	global_store_b8 v[1:2], v0, off
	s_or_b32 exec_lo, exec_lo, s0
	.loc	1 69 43                         ; persistent_matmul.py:69:43
	s_and_b32 s1, s3, s6
	.loc	1 74 25                         ; persistent_matmul.py:74:25
	s_and_saveexec_b32 s0, s1
	s_cbranch_execz .LBB0_299
.LBB0_314:                              ;   in Loop: Header=BB0_260 Depth=1
	.loc	1 68 56                         ; persistent_matmul.py:68:56
	v_add_co_u32 v1, vcc_lo, v11, v15
	s_delay_alu instid0(VALU_DEP_1) | instskip(SKIP_3) | instid1(SALU_CYCLE_1)
	v_add_co_ci_u32_e64 v2, null, v12, v16, vcc_lo
	.loc	1 74 25                         ; persistent_matmul.py:74:25
	global_store_b8 v[1:2], v0, off
	s_or_b32 exec_lo, exec_lo, s0
	.loc	1 69 43                         ; persistent_matmul.py:69:43
	s_and_b32 s1, s3, s7
	.loc	1 74 25                         ; persistent_matmul.py:74:25
	s_and_saveexec_b32 s0, s1
	s_cbranch_execz .LBB0_300
.LBB0_315:                              ;   in Loop: Header=BB0_260 Depth=1
	.loc	1 68 56                         ; persistent_matmul.py:68:56
	v_add_co_u32 v1, vcc_lo, v11, v17
	s_delay_alu instid0(VALU_DEP_1) | instskip(SKIP_3) | instid1(SALU_CYCLE_1)
	v_add_co_ci_u32_e64 v2, null, v12, v18, vcc_lo
	.loc	1 74 25                         ; persistent_matmul.py:74:25
	global_store_b8 v[1:2], v0, off
	s_or_b32 exec_lo, exec_lo, s0
	.loc	1 69 43                         ; persistent_matmul.py:69:43
	s_and_b32 s1, s3, s8
	.loc	1 74 25                         ; persistent_matmul.py:74:25
	s_and_saveexec_b32 s0, s1
	s_cbranch_execz .LBB0_301
.LBB0_316:                              ;   in Loop: Header=BB0_260 Depth=1
	.loc	1 68 56                         ; persistent_matmul.py:68:56
	v_add_co_u32 v1, vcc_lo, v11, v19
	s_delay_alu instid0(VALU_DEP_1) | instskip(SKIP_3) | instid1(SALU_CYCLE_1)
	v_add_co_ci_u32_e64 v2, null, v12, v20, vcc_lo
	.loc	1 74 25                         ; persistent_matmul.py:74:25
	global_store_b8 v[1:2], v0, off
	s_or_b32 exec_lo, exec_lo, s0
	.loc	1 69 43                         ; persistent_matmul.py:69:43
	s_and_b32 s1, s3, s9
	.loc	1 74 25                         ; persistent_matmul.py:74:25
	s_and_saveexec_b32 s0, s1
	s_cbranch_execz .LBB0_302
.LBB0_317:                              ;   in Loop: Header=BB0_260 Depth=1
	.loc	1 68 56                         ; persistent_matmul.py:68:56
	v_add_co_u32 v1, vcc_lo, v11, v21
	s_delay_alu instid0(VALU_DEP_1) | instskip(SKIP_3) | instid1(SALU_CYCLE_1)
	v_add_co_ci_u32_e64 v2, null, v12, v22, vcc_lo
	.loc	1 74 25                         ; persistent_matmul.py:74:25
	global_store_b8 v[1:2], v0, off
	s_or_b32 exec_lo, exec_lo, s0
	.loc	1 69 43                         ; persistent_matmul.py:69:43
	s_and_b32 s1, s3, s10
	.loc	1 74 25                         ; persistent_matmul.py:74:25
	s_and_saveexec_b32 s0, s1
	s_cbranch_execz .LBB0_303
.LBB0_318:                              ;   in Loop: Header=BB0_260 Depth=1
	.loc	1 68 56                         ; persistent_matmul.py:68:56
	v_add_co_u32 v1, vcc_lo, v11, v23
	s_delay_alu instid0(VALU_DEP_1) | instskip(SKIP_3) | instid1(SALU_CYCLE_1)
	v_add_co_ci_u32_e64 v2, null, v12, v24, vcc_lo
	.loc	1 74 25                         ; persistent_matmul.py:74:25
	global_store_b8 v[1:2], v0, off
	s_or_b32 exec_lo, exec_lo, s0
	.loc	1 69 43                         ; persistent_matmul.py:69:43
	s_and_b32 s1, s3, s11
	.loc	1 74 25                         ; persistent_matmul.py:74:25
	s_and_saveexec_b32 s0, s1
	s_cbranch_execz .LBB0_304
.LBB0_319:                              ;   in Loop: Header=BB0_260 Depth=1
	.loc	1 68 56                         ; persistent_matmul.py:68:56
	v_add_co_u32 v1, vcc_lo, v11, v25
	s_delay_alu instid0(VALU_DEP_1) | instskip(SKIP_3) | instid1(SALU_CYCLE_1)
	v_add_co_ci_u32_e64 v2, null, v12, v26, vcc_lo
	.loc	1 74 25                         ; persistent_matmul.py:74:25
	global_store_b8 v[1:2], v0, off
	s_or_b32 exec_lo, exec_lo, s0
	.loc	1 69 43                         ; persistent_matmul.py:69:43
	s_and_b32 s1, s3, s12
	.loc	1 74 25                         ; persistent_matmul.py:74:25
	s_and_saveexec_b32 s0, s1
	s_cbranch_execz .LBB0_305
.LBB0_320:                              ;   in Loop: Header=BB0_260 Depth=1
	.loc	1 68 56                         ; persistent_matmul.py:68:56
	v_add_co_u32 v1, vcc_lo, v11, v27
	s_delay_alu instid0(VALU_DEP_1) | instskip(SKIP_3) | instid1(SALU_CYCLE_1)
	v_add_co_ci_u32_e64 v2, null, v12, v28, vcc_lo
	.loc	1 74 25                         ; persistent_matmul.py:74:25
	global_store_b8 v[1:2], v0, off
	s_or_b32 exec_lo, exec_lo, s0
	.loc	1 69 43                         ; persistent_matmul.py:69:43
	s_and_b32 s1, s3, s13
	.loc	1 74 25                         ; persistent_matmul.py:74:25
	s_and_saveexec_b32 s0, s1
	s_cbranch_execz .LBB0_306
.LBB0_321:                              ;   in Loop: Header=BB0_260 Depth=1
	.loc	1 68 56                         ; persistent_matmul.py:68:56
	v_add_co_u32 v1, vcc_lo, v11, v29
	s_delay_alu instid0(VALU_DEP_1) | instskip(SKIP_3) | instid1(SALU_CYCLE_1)
	v_add_co_ci_u32_e64 v2, null, v12, v30, vcc_lo
	.loc	1 74 25                         ; persistent_matmul.py:74:25
	global_store_b8 v[1:2], v0, off
	s_or_b32 exec_lo, exec_lo, s0
	.loc	1 69 43                         ; persistent_matmul.py:69:43
	s_and_b32 s1, s3, s14
	.loc	1 74 25                         ; persistent_matmul.py:74:25
	s_and_saveexec_b32 s0, s1
	s_cbranch_execz .LBB0_307
.LBB0_322:                              ;   in Loop: Header=BB0_260 Depth=1
	.loc	1 68 56                         ; persistent_matmul.py:68:56
	v_add_co_u32 v1, vcc_lo, v11, v31
	s_delay_alu instid0(VALU_DEP_1) | instskip(SKIP_3) | instid1(SALU_CYCLE_1)
	v_add_co_ci_u32_e64 v2, null, v12, v32, vcc_lo
	.loc	1 74 25                         ; persistent_matmul.py:74:25
	global_store_b8 v[1:2], v0, off
	s_or_b32 exec_lo, exec_lo, s0
	.loc	1 69 43                         ; persistent_matmul.py:69:43
	s_and_b32 s1, s3, s16
	.loc	1 74 25                         ; persistent_matmul.py:74:25
	s_and_saveexec_b32 s0, s1
	s_cbranch_execz .LBB0_259
.LBB0_323:                              ;   in Loop: Header=BB0_260 Depth=1
	.loc	1 68 56                         ; persistent_matmul.py:68:56
	v_add_co_u32 v1, vcc_lo, v11, v33
	s_delay_alu instid0(VALU_DEP_1)
	v_add_co_ci_u32_e64 v2, null, v12, v34, vcc_lo
	.loc	1 74 25                         ; persistent_matmul.py:74:25
	global_store_b8 v[1:2], v0, off
	s_branch .LBB0_259
.LBB0_324:                              ; %.loopexit
	.loc	1 43 4                          ; persistent_matmul.py:43:4
	s_nop 0
	s_sendmsg sendmsg(MSG_DEALLOC_VGPRS)
	s_endpgm
.LBB0_325:
	.loc	1 71 31                         ; persistent_matmul.py:71:31
	v_and_b32_e32 v45, 0x7fffffff, v8
	v_lshrrev_b32_e32 v52, 24, v8
	s_delay_alu instid0(VALU_DEP_2) | instskip(SKIP_1) | instid1(VALU_DEP_2)
	v_bfe_u32 v51, v45, 20, 1
	v_cmp_gt_u32_e32 vcc_lo, 0x43e80000, v45
	v_add3_u32 v51, v45, v51, 0x7ffff
	s_delay_alu instid0(VALU_DEP_1) | instskip(NEXT) | instid1(VALU_DEP_1)
	v_and_b32_e32 v51, 0xfff00000, v51
	v_max_u32_e32 v51, 0x3c800000, v51
	s_delay_alu instid0(VALU_DEP_1) | instskip(NEXT) | instid1(VALU_DEP_1)
	v_add_nc_u32_e32 v51, 0x4000000, v51
	v_lshrrev_b32_e32 v51, 20, v51
	s_delay_alu instid0(VALU_DEP_1) | instskip(SKIP_1) | instid1(VALU_DEP_2)
	v_cndmask_b32_e32 v51, 0x7e, v51, vcc_lo
	v_cmp_lt_u32_e32 vcc_lo, 0x3c6fffff, v45
	v_cndmask_b32_e32 v51, 7, v51, vcc_lo
	v_cmp_lt_u32_e32 vcc_lo, 0x3c500000, v45
	s_delay_alu instid0(VALU_DEP_2) | instskip(SKIP_1) | instid1(VALU_DEP_2)
	v_cndmask_b32_e32 v51, 6, v51, vcc_lo
	v_cmp_lt_u32_e32 vcc_lo, 0x3c2fffff, v45
	v_cndmask_b32_e32 v51, 5, v51, vcc_lo
	v_cmp_lt_u32_e32 vcc_lo, 0x3c100000, v45
	s_delay_alu instid0(VALU_DEP_2) | instskip(SKIP_1) | instid1(VALU_DEP_2)
	v_cndmask_b32_e32 v51, 4, v51, vcc_lo
	v_cmp_lt_u32_e32 vcc_lo, 0x3bdfffff, v45
	v_cndmask_b32_e32 v51, 3, v51, vcc_lo
	v_cmp_lt_u32_e32 vcc_lo, 0x3ba00000, v45
	s_delay_alu instid0(VALU_DEP_2) | instskip(SKIP_1) | instid1(VALU_DEP_2)
	v_cndmask_b32_e32 v51, 2, v51, vcc_lo
	v_cmp_lt_u32_e32 vcc_lo, 0x3b3fffff, v45
	v_cndmask_b32_e32 v51, 1, v51, vcc_lo
	v_cmp_lt_u32_e32 vcc_lo, 0x3a800000, v45
	s_delay_alu instid0(VALU_DEP_2) | instskip(SKIP_2) | instid1(VALU_DEP_3)
	v_cndmask_b32_e32 v45, 0, v51, vcc_lo
	v_cmp_o_f32_e32 vcc_lo, v8, v8
	v_and_b32_e32 v51, 0x80, v52
	v_cndmask_b32_e32 v8, 0x7f, v45, vcc_lo
	.loc	1 68 56                         ; persistent_matmul.py:68:56
	v_add_co_u32 v32, vcc_lo, v23, v32
	s_delay_alu instid0(VALU_DEP_1) | instskip(NEXT) | instid1(VALU_DEP_3)
	v_add_co_ci_u32_e64 v33, null, v44, v33, vcc_lo
	.loc	1 71 31                         ; persistent_matmul.py:71:31
	v_or_b32_e32 v8, v8, v51
	.loc	1 74 25                         ; persistent_matmul.py:74:25
	global_store_b8 v[32:33], v8, off
	s_or_b32 exec_lo, exec_lo, s17
	.loc	1 69 43                         ; persistent_matmul.py:69:43
	s_and_b32 s17, s10, s0
	s_delay_alu instid0(SALU_CYCLE_1)
	.loc	1 74 25                         ; persistent_matmul.py:74:25
	s_and_saveexec_b32 s0, s17
	s_cbranch_execz .LBB0_239
.LBB0_326:
	.loc	1 71 31                         ; persistent_matmul.py:71:31
	v_and_b32_e32 v8, 0x7fffffff, v9
	v_lshrrev_b32_e32 v33, 24, v9
	s_delay_alu instid0(VALU_DEP_2) | instskip(SKIP_1) | instid1(VALU_DEP_2)
	v_bfe_u32 v32, v8, 20, 1
	v_cmp_gt_u32_e32 vcc_lo, 0x43e80000, v8
	v_add3_u32 v32, v8, v32, 0x7ffff
	s_delay_alu instid0(VALU_DEP_1) | instskip(NEXT) | instid1(VALU_DEP_1)
	v_and_b32_e32 v32, 0xfff00000, v32
	v_max_u32_e32 v32, 0x3c800000, v32
	s_delay_alu instid0(VALU_DEP_1) | instskip(NEXT) | instid1(VALU_DEP_1)
	v_add_nc_u32_e32 v32, 0x4000000, v32
	v_lshrrev_b32_e32 v32, 20, v32
	s_delay_alu instid0(VALU_DEP_1) | instskip(SKIP_1) | instid1(VALU_DEP_2)
	v_cndmask_b32_e32 v32, 0x7e, v32, vcc_lo
	v_cmp_lt_u32_e32 vcc_lo, 0x3c6fffff, v8
	v_cndmask_b32_e32 v32, 7, v32, vcc_lo
	v_cmp_lt_u32_e32 vcc_lo, 0x3c500000, v8
	s_delay_alu instid0(VALU_DEP_2) | instskip(SKIP_1) | instid1(VALU_DEP_2)
	v_cndmask_b32_e32 v32, 6, v32, vcc_lo
	v_cmp_lt_u32_e32 vcc_lo, 0x3c2fffff, v8
	v_cndmask_b32_e32 v32, 5, v32, vcc_lo
	v_cmp_lt_u32_e32 vcc_lo, 0x3c100000, v8
	s_delay_alu instid0(VALU_DEP_2) | instskip(SKIP_1) | instid1(VALU_DEP_2)
	;; [unrolled: 5-line block ×3, first 2 shown]
	v_cndmask_b32_e32 v32, 2, v32, vcc_lo
	v_cmp_lt_u32_e32 vcc_lo, 0x3b3fffff, v8
	v_cndmask_b32_e32 v32, 1, v32, vcc_lo
	v_cmp_lt_u32_e32 vcc_lo, 0x3a800000, v8
	s_delay_alu instid0(VALU_DEP_2) | instskip(SKIP_2) | instid1(VALU_DEP_3)
	v_cndmask_b32_e32 v8, 0, v32, vcc_lo
	v_cmp_o_f32_e32 vcc_lo, v9, v9
	v_and_b32_e32 v32, 0x80, v33
	v_cndmask_b32_e32 v33, 0x7f, v8, vcc_lo
	.loc	1 68 56                         ; persistent_matmul.py:68:56
	v_add_co_u32 v8, vcc_lo, v23, v24
	s_delay_alu instid0(VALU_DEP_1) | instskip(NEXT) | instid1(VALU_DEP_3)
	v_add_co_ci_u32_e64 v9, null, v44, v34, vcc_lo
	.loc	1 71 31                         ; persistent_matmul.py:71:31
	v_or_b32_e32 v24, v33, v32
	.loc	1 74 25                         ; persistent_matmul.py:74:25
	global_store_b8 v[8:9], v24, off
	s_or_b32 exec_lo, exec_lo, s0
	.loc	1 69 43                         ; persistent_matmul.py:69:43
	s_and_b32 s1, s10, s1
	s_delay_alu instid0(SALU_CYCLE_1)
	.loc	1 74 25                         ; persistent_matmul.py:74:25
	s_and_saveexec_b32 s0, s1
	s_cbranch_execz .LBB0_240
.LBB0_327:
	.loc	1 71 31                         ; persistent_matmul.py:71:31
	v_and_b32_e32 v8, 0x7fffffff, v10
	v_lshrrev_b32_e32 v24, 24, v10
	s_delay_alu instid0(VALU_DEP_2) | instskip(SKIP_1) | instid1(VALU_DEP_3)
	v_bfe_u32 v9, v8, 20, 1
	v_cmp_gt_u32_e32 vcc_lo, 0x43e80000, v8
	v_and_b32_e32 v24, 0x80, v24
	s_delay_alu instid0(VALU_DEP_3) | instskip(NEXT) | instid1(VALU_DEP_1)
	v_add3_u32 v9, v8, v9, 0x7ffff
	v_and_b32_e32 v9, 0xfff00000, v9
	s_delay_alu instid0(VALU_DEP_1) | instskip(NEXT) | instid1(VALU_DEP_1)
	v_max_u32_e32 v9, 0x3c800000, v9
	v_add_nc_u32_e32 v9, 0x4000000, v9
	s_delay_alu instid0(VALU_DEP_1) | instskip(NEXT) | instid1(VALU_DEP_1)
	v_lshrrev_b32_e32 v9, 20, v9
	v_cndmask_b32_e32 v9, 0x7e, v9, vcc_lo
	v_cmp_lt_u32_e32 vcc_lo, 0x3c6fffff, v8
	s_delay_alu instid0(VALU_DEP_2) | instskip(SKIP_1) | instid1(VALU_DEP_2)
	v_cndmask_b32_e32 v9, 7, v9, vcc_lo
	v_cmp_lt_u32_e32 vcc_lo, 0x3c500000, v8
	v_cndmask_b32_e32 v9, 6, v9, vcc_lo
	v_cmp_lt_u32_e32 vcc_lo, 0x3c2fffff, v8
	s_delay_alu instid0(VALU_DEP_2) | instskip(SKIP_1) | instid1(VALU_DEP_2)
	v_cndmask_b32_e32 v9, 5, v9, vcc_lo
	v_cmp_lt_u32_e32 vcc_lo, 0x3c100000, v8
	;; [unrolled: 5-line block ×4, first 2 shown]
	v_cndmask_b32_e32 v8, 0, v9, vcc_lo
	v_cmp_o_f32_e32 vcc_lo, v10, v10
	s_delay_alu instid0(VALU_DEP_2) | instskip(SKIP_1) | instid1(VALU_DEP_1)
	v_cndmask_b32_e32 v10, 0x7f, v8, vcc_lo
	.loc	1 68 56                         ; persistent_matmul.py:68:56
	v_add_co_u32 v8, vcc_lo, v23, v25
	v_add_co_ci_u32_e64 v9, null, v44, v35, vcc_lo
	s_delay_alu instid0(VALU_DEP_3) | instskip(SKIP_3) | instid1(SALU_CYCLE_1)
	.loc	1 71 31                         ; persistent_matmul.py:71:31
	v_or_b32_e32 v10, v10, v24
	.loc	1 74 25                         ; persistent_matmul.py:74:25
	global_store_b8 v[8:9], v10, off
	s_or_b32 exec_lo, exec_lo, s0
	.loc	1 69 43                         ; persistent_matmul.py:69:43
	s_and_b32 s1, s10, s2
	.loc	1 74 25                         ; persistent_matmul.py:74:25
	s_and_saveexec_b32 s0, s1
	s_cbranch_execz .LBB0_241
.LBB0_328:
	.loc	1 71 31                         ; persistent_matmul.py:71:31
	v_and_b32_e32 v8, 0x7fffffff, v11
	v_lshrrev_b32_e32 v10, 24, v11
	s_delay_alu instid0(VALU_DEP_2) | instskip(SKIP_1) | instid1(VALU_DEP_3)
	v_bfe_u32 v9, v8, 20, 1
	v_cmp_gt_u32_e32 vcc_lo, 0x43e80000, v8
	v_and_b32_e32 v10, 0x80, v10
	s_delay_alu instid0(VALU_DEP_3) | instskip(NEXT) | instid1(VALU_DEP_1)
	v_add3_u32 v9, v8, v9, 0x7ffff
	v_and_b32_e32 v9, 0xfff00000, v9
	s_delay_alu instid0(VALU_DEP_1) | instskip(NEXT) | instid1(VALU_DEP_1)
	v_max_u32_e32 v9, 0x3c800000, v9
	v_add_nc_u32_e32 v9, 0x4000000, v9
	s_delay_alu instid0(VALU_DEP_1) | instskip(NEXT) | instid1(VALU_DEP_1)
	v_lshrrev_b32_e32 v9, 20, v9
	v_cndmask_b32_e32 v9, 0x7e, v9, vcc_lo
	v_cmp_lt_u32_e32 vcc_lo, 0x3c6fffff, v8
	s_delay_alu instid0(VALU_DEP_2) | instskip(SKIP_1) | instid1(VALU_DEP_2)
	v_cndmask_b32_e32 v9, 7, v9, vcc_lo
	v_cmp_lt_u32_e32 vcc_lo, 0x3c500000, v8
	v_cndmask_b32_e32 v9, 6, v9, vcc_lo
	v_cmp_lt_u32_e32 vcc_lo, 0x3c2fffff, v8
	s_delay_alu instid0(VALU_DEP_2) | instskip(SKIP_1) | instid1(VALU_DEP_2)
	v_cndmask_b32_e32 v9, 5, v9, vcc_lo
	v_cmp_lt_u32_e32 vcc_lo, 0x3c100000, v8
	v_cndmask_b32_e32 v9, 4, v9, vcc_lo
	v_cmp_lt_u32_e32 vcc_lo, 0x3bdfffff, v8
	s_delay_alu instid0(VALU_DEP_2) | instskip(SKIP_1) | instid1(VALU_DEP_2)
	v_cndmask_b32_e32 v9, 3, v9, vcc_lo
	v_cmp_lt_u32_e32 vcc_lo, 0x3ba00000, v8
	v_cndmask_b32_e32 v9, 2, v9, vcc_lo
	v_cmp_lt_u32_e32 vcc_lo, 0x3b3fffff, v8
	s_delay_alu instid0(VALU_DEP_2) | instskip(SKIP_1) | instid1(VALU_DEP_2)
	v_cndmask_b32_e32 v9, 1, v9, vcc_lo
	v_cmp_lt_u32_e32 vcc_lo, 0x3a800000, v8
	v_cndmask_b32_e32 v8, 0, v9, vcc_lo
	v_cmp_o_f32_e32 vcc_lo, v11, v11
	s_delay_alu instid0(VALU_DEP_2) | instskip(SKIP_1) | instid1(VALU_DEP_1)
	v_cndmask_b32_e32 v11, 0x7f, v8, vcc_lo
	.loc	1 68 56                         ; persistent_matmul.py:68:56
	v_add_co_u32 v8, vcc_lo, v23, v26
	v_add_co_ci_u32_e64 v9, null, v44, v36, vcc_lo
	s_delay_alu instid0(VALU_DEP_3) | instskip(SKIP_3) | instid1(SALU_CYCLE_1)
	.loc	1 71 31                         ; persistent_matmul.py:71:31
	v_or_b32_e32 v10, v11, v10
	.loc	1 74 25                         ; persistent_matmul.py:74:25
	global_store_b8 v[8:9], v10, off
	s_or_b32 exec_lo, exec_lo, s0
	.loc	1 69 43                         ; persistent_matmul.py:69:43
	s_and_b32 s1, s10, s3
	.loc	1 74 25                         ; persistent_matmul.py:74:25
	s_and_saveexec_b32 s0, s1
	s_cbranch_execz .LBB0_242
.LBB0_329:
	.loc	1 71 31                         ; persistent_matmul.py:71:31
	v_and_b32_e32 v8, 0x7fffffff, v12
	v_lshrrev_b32_e32 v10, 24, v12
	s_delay_alu instid0(VALU_DEP_2) | instskip(SKIP_1) | instid1(VALU_DEP_3)
	v_bfe_u32 v9, v8, 20, 1
	v_cmp_gt_u32_e32 vcc_lo, 0x43e80000, v8
	v_and_b32_e32 v10, 0x80, v10
	s_delay_alu instid0(VALU_DEP_3) | instskip(NEXT) | instid1(VALU_DEP_1)
	v_add3_u32 v9, v8, v9, 0x7ffff
	v_and_b32_e32 v9, 0xfff00000, v9
	s_delay_alu instid0(VALU_DEP_1) | instskip(NEXT) | instid1(VALU_DEP_1)
	v_max_u32_e32 v9, 0x3c800000, v9
	v_add_nc_u32_e32 v9, 0x4000000, v9
	s_delay_alu instid0(VALU_DEP_1) | instskip(NEXT) | instid1(VALU_DEP_1)
	v_lshrrev_b32_e32 v9, 20, v9
	v_cndmask_b32_e32 v9, 0x7e, v9, vcc_lo
	v_cmp_lt_u32_e32 vcc_lo, 0x3c6fffff, v8
	s_delay_alu instid0(VALU_DEP_2) | instskip(SKIP_1) | instid1(VALU_DEP_2)
	v_cndmask_b32_e32 v9, 7, v9, vcc_lo
	v_cmp_lt_u32_e32 vcc_lo, 0x3c500000, v8
	v_cndmask_b32_e32 v9, 6, v9, vcc_lo
	v_cmp_lt_u32_e32 vcc_lo, 0x3c2fffff, v8
	s_delay_alu instid0(VALU_DEP_2) | instskip(SKIP_1) | instid1(VALU_DEP_2)
	v_cndmask_b32_e32 v9, 5, v9, vcc_lo
	v_cmp_lt_u32_e32 vcc_lo, 0x3c100000, v8
	;; [unrolled: 5-line block ×4, first 2 shown]
	v_cndmask_b32_e32 v8, 0, v9, vcc_lo
	v_cmp_o_f32_e32 vcc_lo, v12, v12
	s_delay_alu instid0(VALU_DEP_2) | instskip(SKIP_1) | instid1(VALU_DEP_1)
	v_cndmask_b32_e32 v11, 0x7f, v8, vcc_lo
	.loc	1 68 56                         ; persistent_matmul.py:68:56
	v_add_co_u32 v8, vcc_lo, v23, v27
	v_add_co_ci_u32_e64 v9, null, v44, v37, vcc_lo
	s_delay_alu instid0(VALU_DEP_3) | instskip(SKIP_3) | instid1(SALU_CYCLE_1)
	.loc	1 71 31                         ; persistent_matmul.py:71:31
	v_or_b32_e32 v10, v11, v10
	.loc	1 74 25                         ; persistent_matmul.py:74:25
	global_store_b8 v[8:9], v10, off
	s_or_b32 exec_lo, exec_lo, s0
	.loc	1 69 43                         ; persistent_matmul.py:69:43
	s_and_b32 s1, s10, s4
	.loc	1 74 25                         ; persistent_matmul.py:74:25
	s_and_saveexec_b32 s0, s1
	s_cbranch_execz .LBB0_243
.LBB0_330:
	.loc	1 71 31                         ; persistent_matmul.py:71:31
	v_and_b32_e32 v8, 0x7fffffff, v13
	v_lshrrev_b32_e32 v10, 24, v13
	s_delay_alu instid0(VALU_DEP_2) | instskip(SKIP_1) | instid1(VALU_DEP_3)
	v_bfe_u32 v9, v8, 20, 1
	v_cmp_gt_u32_e32 vcc_lo, 0x43e80000, v8
	v_and_b32_e32 v10, 0x80, v10
	s_delay_alu instid0(VALU_DEP_3) | instskip(NEXT) | instid1(VALU_DEP_1)
	v_add3_u32 v9, v8, v9, 0x7ffff
	v_and_b32_e32 v9, 0xfff00000, v9
	s_delay_alu instid0(VALU_DEP_1) | instskip(NEXT) | instid1(VALU_DEP_1)
	v_max_u32_e32 v9, 0x3c800000, v9
	v_add_nc_u32_e32 v9, 0x4000000, v9
	s_delay_alu instid0(VALU_DEP_1) | instskip(NEXT) | instid1(VALU_DEP_1)
	v_lshrrev_b32_e32 v9, 20, v9
	v_cndmask_b32_e32 v9, 0x7e, v9, vcc_lo
	v_cmp_lt_u32_e32 vcc_lo, 0x3c6fffff, v8
	s_delay_alu instid0(VALU_DEP_2) | instskip(SKIP_1) | instid1(VALU_DEP_2)
	v_cndmask_b32_e32 v9, 7, v9, vcc_lo
	v_cmp_lt_u32_e32 vcc_lo, 0x3c500000, v8
	v_cndmask_b32_e32 v9, 6, v9, vcc_lo
	v_cmp_lt_u32_e32 vcc_lo, 0x3c2fffff, v8
	s_delay_alu instid0(VALU_DEP_2) | instskip(SKIP_1) | instid1(VALU_DEP_2)
	v_cndmask_b32_e32 v9, 5, v9, vcc_lo
	v_cmp_lt_u32_e32 vcc_lo, 0x3c100000, v8
	;; [unrolled: 5-line block ×4, first 2 shown]
	v_cndmask_b32_e32 v8, 0, v9, vcc_lo
	v_cmp_o_f32_e32 vcc_lo, v13, v13
	s_delay_alu instid0(VALU_DEP_2) | instskip(SKIP_1) | instid1(VALU_DEP_1)
	v_cndmask_b32_e32 v11, 0x7f, v8, vcc_lo
	.loc	1 68 56                         ; persistent_matmul.py:68:56
	v_add_co_u32 v8, vcc_lo, v23, v28
	v_add_co_ci_u32_e64 v9, null, v44, v38, vcc_lo
	s_delay_alu instid0(VALU_DEP_3) | instskip(SKIP_3) | instid1(SALU_CYCLE_1)
	.loc	1 71 31                         ; persistent_matmul.py:71:31
	v_or_b32_e32 v10, v11, v10
	.loc	1 74 25                         ; persistent_matmul.py:74:25
	global_store_b8 v[8:9], v10, off
	s_or_b32 exec_lo, exec_lo, s0
	.loc	1 69 43                         ; persistent_matmul.py:69:43
	s_and_b32 s1, s10, s5
	.loc	1 74 25                         ; persistent_matmul.py:74:25
	s_and_saveexec_b32 s0, s1
	s_cbranch_execz .LBB0_244
.LBB0_331:
	.loc	1 71 31                         ; persistent_matmul.py:71:31
	v_and_b32_e32 v8, 0x7fffffff, v14
	v_lshrrev_b32_e32 v10, 24, v14
	s_delay_alu instid0(VALU_DEP_2) | instskip(SKIP_1) | instid1(VALU_DEP_3)
	v_bfe_u32 v9, v8, 20, 1
	v_cmp_gt_u32_e32 vcc_lo, 0x43e80000, v8
	v_and_b32_e32 v10, 0x80, v10
	s_delay_alu instid0(VALU_DEP_3) | instskip(NEXT) | instid1(VALU_DEP_1)
	v_add3_u32 v9, v8, v9, 0x7ffff
	v_and_b32_e32 v9, 0xfff00000, v9
	s_delay_alu instid0(VALU_DEP_1) | instskip(NEXT) | instid1(VALU_DEP_1)
	v_max_u32_e32 v9, 0x3c800000, v9
	v_add_nc_u32_e32 v9, 0x4000000, v9
	s_delay_alu instid0(VALU_DEP_1) | instskip(NEXT) | instid1(VALU_DEP_1)
	v_lshrrev_b32_e32 v9, 20, v9
	v_cndmask_b32_e32 v9, 0x7e, v9, vcc_lo
	v_cmp_lt_u32_e32 vcc_lo, 0x3c6fffff, v8
	s_delay_alu instid0(VALU_DEP_2) | instskip(SKIP_1) | instid1(VALU_DEP_2)
	v_cndmask_b32_e32 v9, 7, v9, vcc_lo
	v_cmp_lt_u32_e32 vcc_lo, 0x3c500000, v8
	v_cndmask_b32_e32 v9, 6, v9, vcc_lo
	v_cmp_lt_u32_e32 vcc_lo, 0x3c2fffff, v8
	s_delay_alu instid0(VALU_DEP_2) | instskip(SKIP_1) | instid1(VALU_DEP_2)
	v_cndmask_b32_e32 v9, 5, v9, vcc_lo
	v_cmp_lt_u32_e32 vcc_lo, 0x3c100000, v8
	;; [unrolled: 5-line block ×4, first 2 shown]
	v_cndmask_b32_e32 v8, 0, v9, vcc_lo
	v_cmp_o_f32_e32 vcc_lo, v14, v14
	s_delay_alu instid0(VALU_DEP_2) | instskip(SKIP_1) | instid1(VALU_DEP_1)
	v_cndmask_b32_e32 v11, 0x7f, v8, vcc_lo
	.loc	1 68 56                         ; persistent_matmul.py:68:56
	v_add_co_u32 v8, vcc_lo, v23, v29
	v_add_co_ci_u32_e64 v9, null, v44, v39, vcc_lo
	s_delay_alu instid0(VALU_DEP_3) | instskip(SKIP_3) | instid1(SALU_CYCLE_1)
	.loc	1 71 31                         ; persistent_matmul.py:71:31
	v_or_b32_e32 v10, v11, v10
	.loc	1 74 25                         ; persistent_matmul.py:74:25
	global_store_b8 v[8:9], v10, off
	s_or_b32 exec_lo, exec_lo, s0
	.loc	1 69 43                         ; persistent_matmul.py:69:43
	s_and_b32 s1, s10, s6
	.loc	1 74 25                         ; persistent_matmul.py:74:25
	s_and_saveexec_b32 s0, s1
	s_cbranch_execz .LBB0_245
.LBB0_332:
	.loc	1 71 31                         ; persistent_matmul.py:71:31
	v_and_b32_e32 v8, 0x7fffffff, v15
	v_lshrrev_b32_e32 v10, 24, v15
	s_delay_alu instid0(VALU_DEP_2) | instskip(SKIP_1) | instid1(VALU_DEP_3)
	v_bfe_u32 v9, v8, 20, 1
	v_cmp_gt_u32_e32 vcc_lo, 0x43e80000, v8
	v_and_b32_e32 v10, 0x80, v10
	s_delay_alu instid0(VALU_DEP_3) | instskip(NEXT) | instid1(VALU_DEP_1)
	v_add3_u32 v9, v8, v9, 0x7ffff
	v_and_b32_e32 v9, 0xfff00000, v9
	s_delay_alu instid0(VALU_DEP_1) | instskip(NEXT) | instid1(VALU_DEP_1)
	v_max_u32_e32 v9, 0x3c800000, v9
	v_add_nc_u32_e32 v9, 0x4000000, v9
	s_delay_alu instid0(VALU_DEP_1) | instskip(NEXT) | instid1(VALU_DEP_1)
	v_lshrrev_b32_e32 v9, 20, v9
	v_cndmask_b32_e32 v9, 0x7e, v9, vcc_lo
	v_cmp_lt_u32_e32 vcc_lo, 0x3c6fffff, v8
	s_delay_alu instid0(VALU_DEP_2) | instskip(SKIP_1) | instid1(VALU_DEP_2)
	v_cndmask_b32_e32 v9, 7, v9, vcc_lo
	v_cmp_lt_u32_e32 vcc_lo, 0x3c500000, v8
	v_cndmask_b32_e32 v9, 6, v9, vcc_lo
	v_cmp_lt_u32_e32 vcc_lo, 0x3c2fffff, v8
	s_delay_alu instid0(VALU_DEP_2) | instskip(SKIP_1) | instid1(VALU_DEP_2)
	v_cndmask_b32_e32 v9, 5, v9, vcc_lo
	v_cmp_lt_u32_e32 vcc_lo, 0x3c100000, v8
	;; [unrolled: 5-line block ×4, first 2 shown]
	v_cndmask_b32_e32 v8, 0, v9, vcc_lo
	v_cmp_o_f32_e32 vcc_lo, v15, v15
	s_delay_alu instid0(VALU_DEP_2) | instskip(SKIP_1) | instid1(VALU_DEP_1)
	v_cndmask_b32_e32 v11, 0x7f, v8, vcc_lo
	.loc	1 68 56                         ; persistent_matmul.py:68:56
	v_add_co_u32 v8, vcc_lo, v23, v30
	v_add_co_ci_u32_e64 v9, null, v44, v40, vcc_lo
	s_delay_alu instid0(VALU_DEP_3) | instskip(SKIP_3) | instid1(SALU_CYCLE_1)
	.loc	1 71 31                         ; persistent_matmul.py:71:31
	v_or_b32_e32 v10, v11, v10
	.loc	1 74 25                         ; persistent_matmul.py:74:25
	global_store_b8 v[8:9], v10, off
	s_or_b32 exec_lo, exec_lo, s0
	.loc	1 69 43                         ; persistent_matmul.py:69:43
	s_and_b32 s1, s10, s7
	.loc	1 74 25                         ; persistent_matmul.py:74:25
	s_and_saveexec_b32 s0, s1
	s_cbranch_execz .LBB0_246
.LBB0_333:
	.loc	1 71 31                         ; persistent_matmul.py:71:31
	v_and_b32_e32 v8, 0x7fffffff, v0
	v_lshrrev_b32_e32 v10, 24, v0
	s_delay_alu instid0(VALU_DEP_2) | instskip(SKIP_1) | instid1(VALU_DEP_3)
	v_bfe_u32 v9, v8, 20, 1
	v_cmp_gt_u32_e32 vcc_lo, 0x43e80000, v8
	v_and_b32_e32 v10, 0x80, v10
	s_delay_alu instid0(VALU_DEP_3) | instskip(NEXT) | instid1(VALU_DEP_1)
	v_add3_u32 v9, v8, v9, 0x7ffff
	v_and_b32_e32 v9, 0xfff00000, v9
	s_delay_alu instid0(VALU_DEP_1) | instskip(NEXT) | instid1(VALU_DEP_1)
	v_max_u32_e32 v9, 0x3c800000, v9
	v_add_nc_u32_e32 v9, 0x4000000, v9
	s_delay_alu instid0(VALU_DEP_1) | instskip(NEXT) | instid1(VALU_DEP_1)
	v_lshrrev_b32_e32 v9, 20, v9
	v_cndmask_b32_e32 v9, 0x7e, v9, vcc_lo
	v_cmp_lt_u32_e32 vcc_lo, 0x3c6fffff, v8
	s_delay_alu instid0(VALU_DEP_2) | instskip(SKIP_1) | instid1(VALU_DEP_2)
	v_cndmask_b32_e32 v9, 7, v9, vcc_lo
	v_cmp_lt_u32_e32 vcc_lo, 0x3c500000, v8
	v_cndmask_b32_e32 v9, 6, v9, vcc_lo
	v_cmp_lt_u32_e32 vcc_lo, 0x3c2fffff, v8
	s_delay_alu instid0(VALU_DEP_2) | instskip(SKIP_1) | instid1(VALU_DEP_2)
	v_cndmask_b32_e32 v9, 5, v9, vcc_lo
	v_cmp_lt_u32_e32 vcc_lo, 0x3c100000, v8
	;; [unrolled: 5-line block ×4, first 2 shown]
	v_cndmask_b32_e32 v8, 0, v9, vcc_lo
	v_cmp_o_f32_e32 vcc_lo, v0, v0
	s_delay_alu instid0(VALU_DEP_2) | instskip(SKIP_1) | instid1(VALU_DEP_1)
	v_cndmask_b32_e32 v0, 0x7f, v8, vcc_lo
	.loc	1 68 56                         ; persistent_matmul.py:68:56
	v_add_co_u32 v8, vcc_lo, v23, v31
	v_add_co_ci_u32_e64 v9, null, v44, v41, vcc_lo
	s_delay_alu instid0(VALU_DEP_3) | instskip(SKIP_3) | instid1(SALU_CYCLE_1)
	.loc	1 71 31                         ; persistent_matmul.py:71:31
	v_or_b32_e32 v0, v0, v10
	.loc	1 74 25                         ; persistent_matmul.py:74:25
	global_store_b8 v[8:9], v0, off
	s_or_b32 exec_lo, exec_lo, s0
	.loc	1 69 43                         ; persistent_matmul.py:69:43
	s_and_b32 s1, s10, s8
	.loc	1 74 25                         ; persistent_matmul.py:74:25
	s_and_saveexec_b32 s0, s1
	s_cbranch_execz .LBB0_247
.LBB0_334:
	.loc	1 71 31                         ; persistent_matmul.py:71:31
	v_and_b32_e32 v0, 0x7fffffff, v1
	v_lshrrev_b32_e32 v9, 24, v1
	s_delay_alu instid0(VALU_DEP_2) | instskip(SKIP_1) | instid1(VALU_DEP_2)
	v_bfe_u32 v8, v0, 20, 1
	v_cmp_gt_u32_e32 vcc_lo, 0x43e80000, v0
	v_add3_u32 v8, v0, v8, 0x7ffff
	s_delay_alu instid0(VALU_DEP_1) | instskip(NEXT) | instid1(VALU_DEP_1)
	v_and_b32_e32 v8, 0xfff00000, v8
	v_max_u32_e32 v8, 0x3c800000, v8
	s_delay_alu instid0(VALU_DEP_1) | instskip(NEXT) | instid1(VALU_DEP_1)
	v_add_nc_u32_e32 v8, 0x4000000, v8
	v_lshrrev_b32_e32 v8, 20, v8
	s_delay_alu instid0(VALU_DEP_1) | instskip(SKIP_1) | instid1(VALU_DEP_2)
	v_cndmask_b32_e32 v8, 0x7e, v8, vcc_lo
	v_cmp_lt_u32_e32 vcc_lo, 0x3c6fffff, v0
	v_cndmask_b32_e32 v8, 7, v8, vcc_lo
	v_cmp_lt_u32_e32 vcc_lo, 0x3c500000, v0
	s_delay_alu instid0(VALU_DEP_2) | instskip(SKIP_1) | instid1(VALU_DEP_2)
	v_cndmask_b32_e32 v8, 6, v8, vcc_lo
	v_cmp_lt_u32_e32 vcc_lo, 0x3c2fffff, v0
	v_cndmask_b32_e32 v8, 5, v8, vcc_lo
	v_cmp_lt_u32_e32 vcc_lo, 0x3c100000, v0
	s_delay_alu instid0(VALU_DEP_2) | instskip(SKIP_1) | instid1(VALU_DEP_2)
	;; [unrolled: 5-line block ×3, first 2 shown]
	v_cndmask_b32_e32 v8, 2, v8, vcc_lo
	v_cmp_lt_u32_e32 vcc_lo, 0x3b3fffff, v0
	v_cndmask_b32_e32 v8, 1, v8, vcc_lo
	v_cmp_lt_u32_e32 vcc_lo, 0x3a800000, v0
	s_delay_alu instid0(VALU_DEP_2) | instskip(SKIP_2) | instid1(VALU_DEP_3)
	v_cndmask_b32_e32 v0, 0, v8, vcc_lo
	v_cmp_o_f32_e32 vcc_lo, v1, v1
	v_and_b32_e32 v8, 0x80, v9
	v_cndmask_b32_e32 v9, 0x7f, v0, vcc_lo
	.loc	1 68 56                         ; persistent_matmul.py:68:56
	v_add_co_u32 v0, vcc_lo, v23, v16
	s_delay_alu instid0(VALU_DEP_1) | instskip(NEXT) | instid1(VALU_DEP_3)
	v_add_co_ci_u32_e64 v1, null, v44, v42, vcc_lo
	.loc	1 71 31                         ; persistent_matmul.py:71:31
	v_or_b32_e32 v8, v9, v8
	.loc	1 74 25                         ; persistent_matmul.py:74:25
	global_store_b8 v[0:1], v8, off
	s_or_b32 exec_lo, exec_lo, s0
	.loc	1 69 43                         ; persistent_matmul.py:69:43
	s_and_b32 s1, s10, s9
	s_delay_alu instid0(SALU_CYCLE_1)
	.loc	1 74 25                         ; persistent_matmul.py:74:25
	s_and_saveexec_b32 s0, s1
	s_cbranch_execz .LBB0_248
.LBB0_335:
	.loc	1 71 31                         ; persistent_matmul.py:71:31
	v_and_b32_e32 v0, 0x7fffffff, v2
	v_lshrrev_b32_e32 v8, 24, v2
	s_delay_alu instid0(VALU_DEP_2) | instskip(SKIP_1) | instid1(VALU_DEP_3)
	v_bfe_u32 v1, v0, 20, 1
	v_cmp_gt_u32_e32 vcc_lo, 0x43e80000, v0
	v_and_b32_e32 v8, 0x80, v8
	s_delay_alu instid0(VALU_DEP_3) | instskip(NEXT) | instid1(VALU_DEP_1)
	v_add3_u32 v1, v0, v1, 0x7ffff
	v_and_b32_e32 v1, 0xfff00000, v1
	s_delay_alu instid0(VALU_DEP_1) | instskip(NEXT) | instid1(VALU_DEP_1)
	v_max_u32_e32 v1, 0x3c800000, v1
	v_add_nc_u32_e32 v1, 0x4000000, v1
	s_delay_alu instid0(VALU_DEP_1) | instskip(NEXT) | instid1(VALU_DEP_1)
	v_lshrrev_b32_e32 v1, 20, v1
	v_cndmask_b32_e32 v1, 0x7e, v1, vcc_lo
	v_cmp_lt_u32_e32 vcc_lo, 0x3c6fffff, v0
	s_delay_alu instid0(VALU_DEP_2) | instskip(SKIP_1) | instid1(VALU_DEP_2)
	v_cndmask_b32_e32 v1, 7, v1, vcc_lo
	v_cmp_lt_u32_e32 vcc_lo, 0x3c500000, v0
	v_cndmask_b32_e32 v1, 6, v1, vcc_lo
	v_cmp_lt_u32_e32 vcc_lo, 0x3c2fffff, v0
	s_delay_alu instid0(VALU_DEP_2) | instskip(SKIP_1) | instid1(VALU_DEP_2)
	v_cndmask_b32_e32 v1, 5, v1, vcc_lo
	v_cmp_lt_u32_e32 vcc_lo, 0x3c100000, v0
	;; [unrolled: 5-line block ×4, first 2 shown]
	v_cndmask_b32_e32 v0, 0, v1, vcc_lo
	v_cmp_o_f32_e32 vcc_lo, v2, v2
	s_delay_alu instid0(VALU_DEP_2) | instskip(SKIP_1) | instid1(VALU_DEP_1)
	v_cndmask_b32_e32 v2, 0x7f, v0, vcc_lo
	.loc	1 68 56                         ; persistent_matmul.py:68:56
	v_add_co_u32 v0, vcc_lo, v23, v17
	v_add_co_ci_u32_e64 v1, null, v44, v43, vcc_lo
	s_delay_alu instid0(VALU_DEP_3) | instskip(SKIP_3) | instid1(SALU_CYCLE_1)
	.loc	1 71 31                         ; persistent_matmul.py:71:31
	v_or_b32_e32 v2, v2, v8
	.loc	1 74 25                         ; persistent_matmul.py:74:25
	global_store_b8 v[0:1], v2, off
	s_or_b32 exec_lo, exec_lo, s0
	.loc	1 69 43                         ; persistent_matmul.py:69:43
	s_and_b32 s1, s10, s11
	.loc	1 74 25                         ; persistent_matmul.py:74:25
	s_and_saveexec_b32 s0, s1
	s_cbranch_execz .LBB0_249
.LBB0_336:
	.loc	1 71 31                         ; persistent_matmul.py:71:31
	v_and_b32_e32 v0, 0x7fffffff, v3
	v_lshrrev_b32_e32 v2, 24, v3
	s_delay_alu instid0(VALU_DEP_2) | instskip(SKIP_1) | instid1(VALU_DEP_3)
	v_bfe_u32 v1, v0, 20, 1
	v_cmp_gt_u32_e32 vcc_lo, 0x43e80000, v0
	v_and_b32_e32 v2, 0x80, v2
	s_delay_alu instid0(VALU_DEP_3) | instskip(NEXT) | instid1(VALU_DEP_1)
	v_add3_u32 v1, v0, v1, 0x7ffff
	v_and_b32_e32 v1, 0xfff00000, v1
	s_delay_alu instid0(VALU_DEP_1) | instskip(NEXT) | instid1(VALU_DEP_1)
	v_max_u32_e32 v1, 0x3c800000, v1
	v_add_nc_u32_e32 v1, 0x4000000, v1
	s_delay_alu instid0(VALU_DEP_1) | instskip(NEXT) | instid1(VALU_DEP_1)
	v_lshrrev_b32_e32 v1, 20, v1
	v_cndmask_b32_e32 v1, 0x7e, v1, vcc_lo
	v_cmp_lt_u32_e32 vcc_lo, 0x3c6fffff, v0
	s_delay_alu instid0(VALU_DEP_2) | instskip(SKIP_1) | instid1(VALU_DEP_2)
	v_cndmask_b32_e32 v1, 7, v1, vcc_lo
	v_cmp_lt_u32_e32 vcc_lo, 0x3c500000, v0
	v_cndmask_b32_e32 v1, 6, v1, vcc_lo
	v_cmp_lt_u32_e32 vcc_lo, 0x3c2fffff, v0
	s_delay_alu instid0(VALU_DEP_2) | instskip(SKIP_1) | instid1(VALU_DEP_2)
	v_cndmask_b32_e32 v1, 5, v1, vcc_lo
	v_cmp_lt_u32_e32 vcc_lo, 0x3c100000, v0
	;; [unrolled: 5-line block ×4, first 2 shown]
	v_cndmask_b32_e32 v0, 0, v1, vcc_lo
	v_cmp_o_f32_e32 vcc_lo, v3, v3
	s_delay_alu instid0(VALU_DEP_2) | instskip(SKIP_1) | instid1(VALU_DEP_1)
	v_cndmask_b32_e32 v3, 0x7f, v0, vcc_lo
	.loc	1 68 56                         ; persistent_matmul.py:68:56
	v_add_co_u32 v0, vcc_lo, v23, v18
	v_add_co_ci_u32_e64 v1, null, v44, v46, vcc_lo
	s_delay_alu instid0(VALU_DEP_3) | instskip(SKIP_3) | instid1(SALU_CYCLE_1)
	.loc	1 71 31                         ; persistent_matmul.py:71:31
	v_or_b32_e32 v2, v3, v2
	.loc	1 74 25                         ; persistent_matmul.py:74:25
	global_store_b8 v[0:1], v2, off
	s_or_b32 exec_lo, exec_lo, s0
	.loc	1 69 43                         ; persistent_matmul.py:69:43
	s_and_b32 s1, s10, s12
	.loc	1 74 25                         ; persistent_matmul.py:74:25
	s_and_saveexec_b32 s0, s1
	s_cbranch_execz .LBB0_250
.LBB0_337:
	.loc	1 71 31                         ; persistent_matmul.py:71:31
	v_and_b32_e32 v0, 0x7fffffff, v4
	v_lshrrev_b32_e32 v2, 24, v4
	s_delay_alu instid0(VALU_DEP_2) | instskip(SKIP_1) | instid1(VALU_DEP_3)
	v_bfe_u32 v1, v0, 20, 1
	v_cmp_gt_u32_e32 vcc_lo, 0x43e80000, v0
	v_and_b32_e32 v2, 0x80, v2
	s_delay_alu instid0(VALU_DEP_3) | instskip(NEXT) | instid1(VALU_DEP_1)
	v_add3_u32 v1, v0, v1, 0x7ffff
	v_and_b32_e32 v1, 0xfff00000, v1
	s_delay_alu instid0(VALU_DEP_1) | instskip(NEXT) | instid1(VALU_DEP_1)
	v_max_u32_e32 v1, 0x3c800000, v1
	v_add_nc_u32_e32 v1, 0x4000000, v1
	s_delay_alu instid0(VALU_DEP_1) | instskip(NEXT) | instid1(VALU_DEP_1)
	v_lshrrev_b32_e32 v1, 20, v1
	v_cndmask_b32_e32 v1, 0x7e, v1, vcc_lo
	v_cmp_lt_u32_e32 vcc_lo, 0x3c6fffff, v0
	s_delay_alu instid0(VALU_DEP_2) | instskip(SKIP_1) | instid1(VALU_DEP_2)
	v_cndmask_b32_e32 v1, 7, v1, vcc_lo
	v_cmp_lt_u32_e32 vcc_lo, 0x3c500000, v0
	v_cndmask_b32_e32 v1, 6, v1, vcc_lo
	v_cmp_lt_u32_e32 vcc_lo, 0x3c2fffff, v0
	s_delay_alu instid0(VALU_DEP_2) | instskip(SKIP_1) | instid1(VALU_DEP_2)
	v_cndmask_b32_e32 v1, 5, v1, vcc_lo
	v_cmp_lt_u32_e32 vcc_lo, 0x3c100000, v0
	;; [unrolled: 5-line block ×4, first 2 shown]
	v_cndmask_b32_e32 v0, 0, v1, vcc_lo
	v_cmp_o_f32_e32 vcc_lo, v4, v4
	s_delay_alu instid0(VALU_DEP_2) | instskip(SKIP_1) | instid1(VALU_DEP_1)
	v_cndmask_b32_e32 v3, 0x7f, v0, vcc_lo
	.loc	1 68 56                         ; persistent_matmul.py:68:56
	v_add_co_u32 v0, vcc_lo, v23, v19
	v_add_co_ci_u32_e64 v1, null, v44, v47, vcc_lo
	s_delay_alu instid0(VALU_DEP_3) | instskip(SKIP_3) | instid1(SALU_CYCLE_1)
	.loc	1 71 31                         ; persistent_matmul.py:71:31
	v_or_b32_e32 v2, v3, v2
	.loc	1 74 25                         ; persistent_matmul.py:74:25
	global_store_b8 v[0:1], v2, off
	s_or_b32 exec_lo, exec_lo, s0
	.loc	1 69 43                         ; persistent_matmul.py:69:43
	s_and_b32 s1, s10, s13
	.loc	1 74 25                         ; persistent_matmul.py:74:25
	s_and_saveexec_b32 s0, s1
	s_cbranch_execz .LBB0_251
.LBB0_338:
	.loc	1 71 31                         ; persistent_matmul.py:71:31
	v_and_b32_e32 v0, 0x7fffffff, v5
	v_lshrrev_b32_e32 v2, 24, v5
	s_delay_alu instid0(VALU_DEP_2) | instskip(SKIP_1) | instid1(VALU_DEP_3)
	v_bfe_u32 v1, v0, 20, 1
	v_cmp_gt_u32_e32 vcc_lo, 0x43e80000, v0
	v_and_b32_e32 v2, 0x80, v2
	s_delay_alu instid0(VALU_DEP_3) | instskip(NEXT) | instid1(VALU_DEP_1)
	v_add3_u32 v1, v0, v1, 0x7ffff
	v_and_b32_e32 v1, 0xfff00000, v1
	s_delay_alu instid0(VALU_DEP_1) | instskip(NEXT) | instid1(VALU_DEP_1)
	v_max_u32_e32 v1, 0x3c800000, v1
	v_add_nc_u32_e32 v1, 0x4000000, v1
	s_delay_alu instid0(VALU_DEP_1) | instskip(NEXT) | instid1(VALU_DEP_1)
	v_lshrrev_b32_e32 v1, 20, v1
	v_cndmask_b32_e32 v1, 0x7e, v1, vcc_lo
	v_cmp_lt_u32_e32 vcc_lo, 0x3c6fffff, v0
	s_delay_alu instid0(VALU_DEP_2) | instskip(SKIP_1) | instid1(VALU_DEP_2)
	v_cndmask_b32_e32 v1, 7, v1, vcc_lo
	v_cmp_lt_u32_e32 vcc_lo, 0x3c500000, v0
	v_cndmask_b32_e32 v1, 6, v1, vcc_lo
	v_cmp_lt_u32_e32 vcc_lo, 0x3c2fffff, v0
	s_delay_alu instid0(VALU_DEP_2) | instskip(SKIP_1) | instid1(VALU_DEP_2)
	v_cndmask_b32_e32 v1, 5, v1, vcc_lo
	v_cmp_lt_u32_e32 vcc_lo, 0x3c100000, v0
	;; [unrolled: 5-line block ×4, first 2 shown]
	v_cndmask_b32_e32 v0, 0, v1, vcc_lo
	v_cmp_o_f32_e32 vcc_lo, v5, v5
	s_delay_alu instid0(VALU_DEP_2) | instskip(SKIP_1) | instid1(VALU_DEP_1)
	v_cndmask_b32_e32 v3, 0x7f, v0, vcc_lo
	.loc	1 68 56                         ; persistent_matmul.py:68:56
	v_add_co_u32 v0, vcc_lo, v23, v20
	v_add_co_ci_u32_e64 v1, null, v44, v48, vcc_lo
	s_delay_alu instid0(VALU_DEP_3) | instskip(SKIP_3) | instid1(SALU_CYCLE_1)
	.loc	1 71 31                         ; persistent_matmul.py:71:31
	v_or_b32_e32 v2, v3, v2
	.loc	1 74 25                         ; persistent_matmul.py:74:25
	global_store_b8 v[0:1], v2, off
	s_or_b32 exec_lo, exec_lo, s0
	.loc	1 69 43                         ; persistent_matmul.py:69:43
	s_and_b32 s1, s10, s14
	.loc	1 74 25                         ; persistent_matmul.py:74:25
	s_and_saveexec_b32 s0, s1
	s_cbranch_execz .LBB0_252
.LBB0_339:
	.loc	1 71 31                         ; persistent_matmul.py:71:31
	v_and_b32_e32 v0, 0x7fffffff, v6
	v_lshrrev_b32_e32 v2, 24, v6
	s_delay_alu instid0(VALU_DEP_2) | instskip(SKIP_1) | instid1(VALU_DEP_3)
	v_bfe_u32 v1, v0, 20, 1
	v_cmp_gt_u32_e32 vcc_lo, 0x43e80000, v0
	v_and_b32_e32 v2, 0x80, v2
	s_delay_alu instid0(VALU_DEP_3) | instskip(NEXT) | instid1(VALU_DEP_1)
	v_add3_u32 v1, v0, v1, 0x7ffff
	v_and_b32_e32 v1, 0xfff00000, v1
	s_delay_alu instid0(VALU_DEP_1) | instskip(NEXT) | instid1(VALU_DEP_1)
	v_max_u32_e32 v1, 0x3c800000, v1
	v_add_nc_u32_e32 v1, 0x4000000, v1
	s_delay_alu instid0(VALU_DEP_1) | instskip(NEXT) | instid1(VALU_DEP_1)
	v_lshrrev_b32_e32 v1, 20, v1
	v_cndmask_b32_e32 v1, 0x7e, v1, vcc_lo
	v_cmp_lt_u32_e32 vcc_lo, 0x3c6fffff, v0
	s_delay_alu instid0(VALU_DEP_2) | instskip(SKIP_1) | instid1(VALU_DEP_2)
	v_cndmask_b32_e32 v1, 7, v1, vcc_lo
	v_cmp_lt_u32_e32 vcc_lo, 0x3c500000, v0
	v_cndmask_b32_e32 v1, 6, v1, vcc_lo
	v_cmp_lt_u32_e32 vcc_lo, 0x3c2fffff, v0
	s_delay_alu instid0(VALU_DEP_2) | instskip(SKIP_1) | instid1(VALU_DEP_2)
	v_cndmask_b32_e32 v1, 5, v1, vcc_lo
	v_cmp_lt_u32_e32 vcc_lo, 0x3c100000, v0
	;; [unrolled: 5-line block ×4, first 2 shown]
	v_cndmask_b32_e32 v0, 0, v1, vcc_lo
	v_cmp_o_f32_e32 vcc_lo, v6, v6
	s_delay_alu instid0(VALU_DEP_2) | instskip(SKIP_1) | instid1(VALU_DEP_1)
	v_cndmask_b32_e32 v3, 0x7f, v0, vcc_lo
	.loc	1 68 56                         ; persistent_matmul.py:68:56
	v_add_co_u32 v0, vcc_lo, v23, v21
	v_add_co_ci_u32_e64 v1, null, v44, v49, vcc_lo
	s_delay_alu instid0(VALU_DEP_3) | instskip(SKIP_3) | instid1(SALU_CYCLE_1)
	.loc	1 71 31                         ; persistent_matmul.py:71:31
	v_or_b32_e32 v2, v3, v2
	.loc	1 74 25                         ; persistent_matmul.py:74:25
	global_store_b8 v[0:1], v2, off
	s_or_b32 exec_lo, exec_lo, s0
	.loc	1 69 43                         ; persistent_matmul.py:69:43
	s_and_b32 s1, s10, s16
	.loc	1 74 25                         ; persistent_matmul.py:74:25
	s_and_saveexec_b32 s0, s1
	s_cbranch_execnz .LBB0_253
	s_branch .LBB0_254
.Ltmp61:
	.section	.rodata,"a",@progbits
	.p2align	6, 0x0
	.amdhsa_kernel matmul_kernel_persistent
		.amdhsa_group_segment_fixed_size 0
		.amdhsa_private_segment_fixed_size 0
		.amdhsa_kernarg_size 80
		.amdhsa_user_sgpr_count 15
		.amdhsa_user_sgpr_dispatch_ptr 0
		.amdhsa_user_sgpr_queue_ptr 0
		.amdhsa_user_sgpr_kernarg_segment_ptr 1
		.amdhsa_user_sgpr_dispatch_id 0
		.amdhsa_user_sgpr_private_segment_size 0
		.amdhsa_wavefront_size32 1
		.amdhsa_uses_dynamic_stack 0
		.amdhsa_enable_private_segment 0
		.amdhsa_system_sgpr_workgroup_id_x 1
		.amdhsa_system_sgpr_workgroup_id_y 0
		.amdhsa_system_sgpr_workgroup_id_z 0
		.amdhsa_system_sgpr_workgroup_info 0
		.amdhsa_system_vgpr_workitem_id 0
		.amdhsa_next_free_vgpr 212
		.amdhsa_next_free_sgpr 50
		.amdhsa_reserve_vcc 1
		.amdhsa_float_round_mode_32 0
		.amdhsa_float_round_mode_16_64 0
		.amdhsa_float_denorm_mode_32 3
		.amdhsa_float_denorm_mode_16_64 3
		.amdhsa_dx10_clamp 1
		.amdhsa_ieee_mode 1
		.amdhsa_fp16_overflow 0
		.amdhsa_workgroup_processor_mode 1
		.amdhsa_memory_ordered 1
		.amdhsa_forward_progress 1
		.amdhsa_shared_vgpr_count 0
		.amdhsa_inst_pref_size 63
		.amdhsa_exception_fp_ieee_invalid_op 0
		.amdhsa_exception_fp_denorm_src 0
		.amdhsa_exception_fp_ieee_div_zero 0
		.amdhsa_exception_fp_ieee_overflow 0
		.amdhsa_exception_fp_ieee_underflow 0
		.amdhsa_exception_fp_ieee_inexact 0
		.amdhsa_exception_int_div_zero 0
	.end_amdhsa_kernel
	.text
.Lfunc_end0:
	.size	matmul_kernel_persistent, .Lfunc_end0-matmul_kernel_persistent
	.cfi_endproc
                                        ; -- End function
	.set matmul_kernel_persistent.num_vgpr, 212
	.set matmul_kernel_persistent.num_agpr, 0
	.set matmul_kernel_persistent.numbered_sgpr, 50
	.set matmul_kernel_persistent.num_named_barrier, 0
	.set matmul_kernel_persistent.private_seg_size, 0
	.set matmul_kernel_persistent.uses_vcc, 1
	.set matmul_kernel_persistent.uses_flat_scratch, 0
	.set matmul_kernel_persistent.has_dyn_sized_stack, 0
	.set matmul_kernel_persistent.has_recursion, 0
	.set matmul_kernel_persistent.has_indirect_call, 0
	.section	.AMDGPU.csdata,"",@progbits
; Kernel info:
; codeLenInByte = 34848
; TotalNumSgprs: 52
; NumVgprs: 212
; ScratchSize: 0
; MemoryBound: 0
; FloatMode: 240
; IeeeMode: 1
; LDSByteSize: 0 bytes/workgroup (compile time only)
; SGPRBlocks: 0
; VGPRBlocks: 26
; NumSGPRsForWavesPerEU: 52
; NumVGPRsForWavesPerEU: 212
; Occupancy: 7
; WaveLimiterHint : 0
; COMPUTE_PGM_RSRC2:SCRATCH_EN: 0
; COMPUTE_PGM_RSRC2:USER_SGPR: 15
; COMPUTE_PGM_RSRC2:TRAP_HANDLER: 0
; COMPUTE_PGM_RSRC2:TGID_X_EN: 1
; COMPUTE_PGM_RSRC2:TGID_Y_EN: 0
; COMPUTE_PGM_RSRC2:TGID_Z_EN: 0
; COMPUTE_PGM_RSRC2:TIDIG_COMP_CNT: 0
	.text
	.p2alignl 7, 3214868480
	.fill 96, 4, 3214868480
	.section	.AMDGPU.gpr_maximums,"",@progbits
	.set amdgpu.max_num_vgpr, 0
	.set amdgpu.max_num_agpr, 0
	.set amdgpu.max_num_sgpr, 0
	.set amdgpu.max_num_named_barrier, 0
	.text
	.section	.debug_abbrev,"",@progbits
	.byte	1                               ; Abbreviation Code
	.byte	17                              ; DW_TAG_compile_unit
	.byte	1                               ; DW_CHILDREN_yes
	.byte	37                              ; DW_AT_producer
	.byte	14                              ; DW_FORM_strp
	.byte	19                              ; DW_AT_language
	.byte	5                               ; DW_FORM_data2
	.byte	3                               ; DW_AT_name
	.byte	14                              ; DW_FORM_strp
	.byte	16                              ; DW_AT_stmt_list
	.byte	23                              ; DW_FORM_sec_offset
	.byte	27                              ; DW_AT_comp_dir
	.byte	14                              ; DW_FORM_strp
	.byte	17                              ; DW_AT_low_pc
	.byte	1                               ; DW_FORM_addr
	.byte	18                              ; DW_AT_high_pc
	.byte	6                               ; DW_FORM_data4
	.byte	0                               ; EOM(1)
	.byte	0                               ; EOM(2)
	.byte	2                               ; Abbreviation Code
	.byte	46                              ; DW_TAG_subprogram
	.byte	0                               ; DW_CHILDREN_no
	.byte	3                               ; DW_AT_name
	.byte	14                              ; DW_FORM_strp
	.byte	32                              ; DW_AT_inline
	.byte	11                              ; DW_FORM_data1
	.byte	0                               ; EOM(1)
	.byte	0                               ; EOM(2)
	.byte	3                               ; Abbreviation Code
	.byte	46                              ; DW_TAG_subprogram
	.byte	1                               ; DW_CHILDREN_yes
	.byte	17                              ; DW_AT_low_pc
	.byte	1                               ; DW_FORM_addr
	.byte	18                              ; DW_AT_high_pc
	.byte	6                               ; DW_FORM_data4
	.byte	49                              ; DW_AT_abstract_origin
	.byte	19                              ; DW_FORM_ref4
	.byte	0                               ; EOM(1)
	.byte	0                               ; EOM(2)
	.byte	4                               ; Abbreviation Code
	.byte	29                              ; DW_TAG_inlined_subroutine
	.byte	0                               ; DW_CHILDREN_no
	.byte	49                              ; DW_AT_abstract_origin
	.byte	19                              ; DW_FORM_ref4
	.byte	85                              ; DW_AT_ranges
	.byte	23                              ; DW_FORM_sec_offset
	.byte	88                              ; DW_AT_call_file
	.byte	11                              ; DW_FORM_data1
	.byte	89                              ; DW_AT_call_line
	.byte	11                              ; DW_FORM_data1
	.byte	87                              ; DW_AT_call_column
	.byte	11                              ; DW_FORM_data1
	.byte	0                               ; EOM(1)
	.byte	0                               ; EOM(2)
	;; [unrolled: 1-line block ×3, first 2 shown]
	.section	.debug_info,"",@progbits
.Lcu_begin0:
	.long	.Ldebug_info_end0-.Ldebug_info_start0 ; Length of Unit
.Ldebug_info_start0:
	.short	4                               ; DWARF version number
	.long	.debug_abbrev                   ; Offset Into Abbrev. Section
	.byte	8                               ; Address Size (in bytes)
	.byte	1                               ; Abbrev [1] 0xb:0x74 DW_TAG_compile_unit
	.long	.Linfo_string0                  ; DW_AT_producer
	.short	2                               ; DW_AT_language
	.long	.Linfo_string1                  ; DW_AT_name
	.long	.Lline_table_start0             ; DW_AT_stmt_list
	.long	.Linfo_string2                  ; DW_AT_comp_dir
	.quad	.Lfunc_begin0                   ; DW_AT_low_pc
	.long	.Lfunc_end0-.Lfunc_begin0       ; DW_AT_high_pc
	.byte	2                               ; Abbrev [2] 0x2a:0x6 DW_TAG_subprogram
	.long	.Linfo_string3                  ; DW_AT_name
	.byte	1                               ; DW_AT_inline
	.byte	3                               ; Abbrev [3] 0x30:0x4e DW_TAG_subprogram
	.quad	.Lfunc_begin0                   ; DW_AT_low_pc
	.long	.Lfunc_end0-.Lfunc_begin0       ; DW_AT_high_pc
	.long	42                              ; DW_AT_abstract_origin
	.byte	4                               ; Abbrev [4] 0x41:0xc DW_TAG_inlined_subroutine
	.long	42                              ; DW_AT_abstract_origin
	.long	.Ldebug_ranges0                 ; DW_AT_ranges
	.byte	1                               ; DW_AT_call_file
	.byte	31                              ; DW_AT_call_line
	.byte	27                              ; DW_AT_call_column
	.byte	4                               ; Abbrev [4] 0x4d:0xc DW_TAG_inlined_subroutine
	.long	42                              ; DW_AT_abstract_origin
	.long	.Ldebug_ranges1                 ; DW_AT_ranges
	.byte	1                               ; DW_AT_call_file
	.byte	32                              ; DW_AT_call_line
	.byte	27                              ; DW_AT_call_column
	;; [unrolled: 6-line block ×5, first 2 shown]
	.byte	0                               ; End Of Children Mark
	.byte	0                               ; End Of Children Mark
.Ldebug_info_end0:
	.section	.debug_ranges,"",@progbits
.Ldebug_ranges0:
	.quad	.Ltmp1-.Lfunc_begin0
	.quad	.Ltmp2-.Lfunc_begin0
	;; [unrolled: 1-line block ×10, first 2 shown]
	.quad	0
	.quad	0
.Ldebug_ranges1:
	.quad	.Ltmp5-.Lfunc_begin0
	.quad	.Ltmp6-.Lfunc_begin0
	.quad	.Ltmp9-.Lfunc_begin0
	.quad	.Ltmp10-.Lfunc_begin0
	.quad	.Ltmp11-.Lfunc_begin0
	.quad	.Ltmp12-.Lfunc_begin0
	.quad	.Ltmp13-.Lfunc_begin0
	.quad	.Ltmp14-.Lfunc_begin0
	.quad	.Ltmp15-.Lfunc_begin0
	.quad	.Ltmp16-.Lfunc_begin0
	.quad	0
	.quad	0
.Ldebug_ranges2:
	.quad	.Ltmp17-.Lfunc_begin0
	.quad	.Ltmp18-.Lfunc_begin0
	;; [unrolled: 1-line block ×10, first 2 shown]
	.quad	0
	.quad	0
.Ldebug_ranges3:
	.quad	.Ltmp27-.Lfunc_begin0
	.quad	.Ltmp28-.Lfunc_begin0
	;; [unrolled: 1-line block ×14, first 2 shown]
	.quad	0
	.quad	0
.Ldebug_ranges4:
	.quad	.Ltmp41-.Lfunc_begin0
	.quad	.Ltmp42-.Lfunc_begin0
	;; [unrolled: 1-line block ×20, first 2 shown]
	.quad	0
	.quad	0
	.section	.debug_str,"MS",@progbits,1
.Linfo_string0:
	.asciz	"triton"                        ; string offset=0
.Linfo_string1:
	.asciz	"persistent_matmul.py"          ; string offset=7
.Linfo_string2:
	.asciz	"/root/src/amdgpu-assembly/repos/triton-lang__triton-aot" ; string offset=28
.Linfo_string3:
	.asciz	"matmul_kernel_persistent"      ; string offset=84
	.section	".note.GNU-stack","",@progbits
	.amdgpu_metadata
---
amdhsa.kernels:
  - .args:
      - .address_space:  global
        .offset:         0
        .size:           8
        .value_kind:     global_buffer
      - .address_space:  global
        .offset:         8
        .size:           8
        .value_kind:     global_buffer
      - .address_space:  global
        .offset:         16
        .size:           8
        .value_kind:     global_buffer
      - .offset:         24
        .size:           4
        .value_kind:     by_value
      - .offset:         28
        .size:           4
        .value_kind:     by_value
      - .offset:         32
        .size:           4
        .value_kind:     by_value
      - .offset:         36
        .size:           4
        .value_kind:     by_value
      - .offset:         40
        .size:           4
        .value_kind:     by_value
      - .offset:         44
        .size:           4
        .value_kind:     by_value
      - .offset:         48
        .size:           4
        .value_kind:     by_value
      - .offset:         52
        .size:           4
        .value_kind:     by_value
      - .offset:         56
        .size:           4
        .value_kind:     by_value
      - .address_space:  global
        .offset:         64
        .size:           8
        .value_kind:     global_buffer
      - .address_space:  global
        .offset:         72
        .size:           8
        .value_kind:     global_buffer
    .group_segment_fixed_size: 0
    .kernarg_segment_align: 8
    .kernarg_segment_size: 80
    .max_flat_workgroup_size: 128
    .name:           matmul_kernel_persistent
    .private_segment_fixed_size: 0
    .sgpr_count:     52
    .sgpr_spill_count: 0
    .symbol:         matmul_kernel_persistent.kd
    .uniform_work_group_size: 1
    .uses_dynamic_stack: false
    .vgpr_count:     212
    .vgpr_spill_count: 0
    .wavefront_size: 32
    .workgroup_processor_mode: 1
amdhsa.target:   amdgcn-amd-amdhsa--gfx1100
amdhsa.version:
  - 1
  - 2
...

	.end_amdgpu_metadata
	.section	.debug_line,"",@progbits
.Lline_table_start0:
